;; amdgpu-corpus repo=ROCm/rocFFT kind=compiled arch=gfx1030 opt=O3
	.text
	.amdgcn_target "amdgcn-amd-amdhsa--gfx1030"
	.amdhsa_code_object_version 6
	.protected	bluestein_single_fwd_len3000_dim1_sp_op_CI_CI ; -- Begin function bluestein_single_fwd_len3000_dim1_sp_op_CI_CI
	.globl	bluestein_single_fwd_len3000_dim1_sp_op_CI_CI
	.p2align	8
	.type	bluestein_single_fwd_len3000_dim1_sp_op_CI_CI,@function
bluestein_single_fwd_len3000_dim1_sp_op_CI_CI: ; @bluestein_single_fwd_len3000_dim1_sp_op_CI_CI
; %bb.0:
	s_load_dwordx4 s[12:15], s[4:5], 0x28
	v_mul_u32_u24_e32 v1, 0x290, v0
	s_mov_b64 s[22:23], s[2:3]
	s_mov_b64 s[20:21], s[0:1]
	v_mov_b32_e32 v2, 0
	s_add_u32 s20, s20, s7
	v_lshrrev_b32_e32 v3, 16, v1
	s_addc_u32 s21, s21, 0
	s_mov_b32 s0, exec_lo
	v_add_nc_u32_e32 v1, s6, v3
	s_waitcnt lgkmcnt(0)
	v_cmpx_gt_u64_e64 s[12:13], v[1:2]
	s_cbranch_execz .LBB0_2
; %bb.1:
	s_clause 0x2
	s_load_dwordx4 s[8:11], s[4:5], 0x0
	s_load_dwordx4 s[16:19], s[4:5], 0x18
	s_load_dwordx2 s[12:13], s[4:5], 0x38
	v_mul_lo_u16 v2, 0x64, v3
	v_mov_b32_e32 v148, 3
	v_sub_nc_u16 v112, v0, v2
	v_and_b32_e32 v25, 0xffff, v112
	v_and_b32_e32 v116, 0xff, v112
	v_lshlrev_b32_e32 v108, 3, v25
	v_add_co_u32 v85, null, 0x12c, v25
	s_waitcnt lgkmcnt(0)
	s_load_dwordx4 s[0:3], s[18:19], 0x0
	v_add_co_u32 v84, null, 0x258, v25
	v_add_co_u32 v83, null, 0x384, v25
	;; [unrolled: 1-line block ×5, first 2 shown]
	v_mov_b32_e32 v41, v25
	v_add_nc_u32_e32 v235, 0x800, v108
	v_add_nc_u32_e32 v245, 0x4000, v108
	;; [unrolled: 1-line block ×4, first 2 shown]
	v_mov_b32_e32 v182, v41
	v_add_nc_u32_e32 v237, 0x1800, v108
	v_add_nc_u32_e32 v239, 0x2400, v108
	;; [unrolled: 1-line block ×3, first 2 shown]
	s_waitcnt lgkmcnt(0)
	v_mad_u64_u32 v[4:5], null, s2, v1, 0
	v_add_co_u32 v198, s2, s8, v108
	v_add_co_ci_u32_e64 v199, null, s9, 0, s2
	v_add_co_u32 v113, null, 0xc8, v41
	v_mov_b32_e32 v0, v5
	v_add_co_u32 v89, null, 0x1f4, v41
	v_add_co_u32 v88, null, 0x320, v41
	v_mad_u64_u32 v[2:3], null, s3, v1, v[0:1]
	v_and_b32_e32 v115, 0xff, v114
	v_mov_b32_e32 v5, v2
	buffer_store_dword v4, off, s[20:23], 0 offset:160 ; 4-byte Folded Spill
	buffer_store_dword v5, off, s[20:23], 0 offset:164 ; 4-byte Folded Spill
	s_load_dwordx4 s[4:7], s[16:17], 0x0
	s_waitcnt lgkmcnt(0)
	v_mad_u64_u32 v[2:3], null, s6, v1, 0
	s_mul_i32 s2, s5, 0x960
	s_mul_hi_u32 s3, s4, 0x960
	s_add_i32 s2, s3, s2
	s_mul_i32 s3, s4, 0x960
	v_mov_b32_e32 v0, v3
	v_mad_u64_u32 v[0:1], null, s7, v1, v[0:1]
	v_mov_b32_e32 v3, v0
	v_mad_u64_u32 v[0:1], null, s4, v25, 0
	v_mad_u64_u32 v[4:5], null, s5, v25, v[1:2]
	v_lshlrev_b64 v[2:3], 3, v[2:3]
	s_mulk_i32 s5, 0xaec0
	s_sub_i32 s5, s5, s4
	v_add_co_u32 v2, vcc_lo, s14, v2
	v_mov_b32_e32 v1, v4
	global_load_dwordx2 v[4:5], v108, s[8:9]
	v_add_co_ci_u32_e32 v3, vcc_lo, s15, v3, vcc_lo
	v_lshlrev_b64 v[0:1], 3, v[0:1]
	v_add_co_u32 v0, vcc_lo, v2, v0
	v_add_co_ci_u32_e32 v1, vcc_lo, v3, v1, vcc_lo
	global_load_dwordx2 v[2:3], v[0:1], off
	v_add_co_u32 v0, vcc_lo, v0, s3
	v_add_co_ci_u32_e32 v1, vcc_lo, s2, v1, vcc_lo
	v_add_co_u32 v10, vcc_lo, 0x800, v198
	v_add_co_ci_u32_e32 v11, vcc_lo, 0, v199, vcc_lo
	s_waitcnt vmcnt(1)
	buffer_store_dword v4, off, s[20:23], 0 offset:168 ; 4-byte Folded Spill
	buffer_store_dword v5, off, s[20:23], 0 offset:172 ; 4-byte Folded Spill
	s_waitcnt vmcnt(0)
	v_mul_f32_e32 v18, v3, v5
	v_fmac_f32_e32 v18, v2, v4
	v_mul_f32_e32 v2, v2, v5
	global_load_dwordx2 v[5:6], v[10:11], off offset:352
	v_fma_f32 v19, v3, v4, -v2
	global_load_dwordx2 v[2:3], v[0:1], off
	v_add_co_u32 v0, vcc_lo, v0, s3
	v_add_co_ci_u32_e32 v1, vcc_lo, s2, v1, vcc_lo
	v_add_co_u32 v20, vcc_lo, 0x1000, v198
	v_add_co_ci_u32_e32 v21, vcc_lo, 0, v199, vcc_lo
	s_waitcnt vmcnt(1)
	buffer_store_dword v5, off, s[20:23], 0 offset:176 ; 4-byte Folded Spill
	buffer_store_dword v6, off, s[20:23], 0 offset:180 ; 4-byte Folded Spill
	s_waitcnt vmcnt(0)
	v_mul_f32_e32 v4, v3, v6
	v_fmac_f32_e32 v4, v2, v5
	v_mul_f32_e32 v2, v2, v6
	v_fma_f32 v5, v3, v5, -v2
	global_load_dwordx2 v[2:3], v[0:1], off
	v_add_co_u32 v0, vcc_lo, v0, s3
	v_add_co_ci_u32_e32 v1, vcc_lo, s2, v1, vcc_lo
	ds_write_b64 v108, v[4:5] offset:2400
	global_load_dwordx2 v[5:6], v[20:21], off offset:704
	v_add_co_u32 v16, vcc_lo, 0x1800, v198
	v_add_co_ci_u32_e32 v17, vcc_lo, 0, v199, vcc_lo
	s_waitcnt vmcnt(0)
	buffer_store_dword v5, off, s[20:23], 0 offset:184 ; 4-byte Folded Spill
	buffer_store_dword v6, off, s[20:23], 0 offset:188 ; 4-byte Folded Spill
	v_mul_f32_e32 v4, v3, v6
	v_fmac_f32_e32 v4, v2, v5
	v_mul_f32_e32 v2, v2, v6
	v_fma_f32 v5, v3, v5, -v2
	global_load_dwordx2 v[2:3], v[0:1], off
	v_add_co_u32 v0, vcc_lo, v0, s3
	v_add_co_ci_u32_e32 v1, vcc_lo, s2, v1, vcc_lo
	ds_write_b64 v108, v[4:5] offset:4800
	global_load_dwordx2 v[5:6], v[16:17], off offset:1056
	v_add_co_u32 v14, vcc_lo, 0x2000, v198
	v_add_co_ci_u32_e32 v15, vcc_lo, 0, v199, vcc_lo
	s_waitcnt vmcnt(0)
	buffer_store_dword v5, off, s[20:23], 0 offset:196 ; 4-byte Folded Spill
	buffer_store_dword v6, off, s[20:23], 0 offset:200 ; 4-byte Folded Spill
	;; [unrolled: 14-line block ×3, first 2 shown]
	v_mul_f32_e32 v4, v3, v6
	v_fmac_f32_e32 v4, v2, v5
	v_mul_f32_e32 v2, v2, v6
	v_fma_f32 v5, v3, v5, -v2
	global_load_dwordx2 v[2:3], v[0:1], off
	v_add_co_u32 v0, vcc_lo, v0, s3
	v_add_co_ci_u32_e32 v1, vcc_lo, s2, v1, vcc_lo
	ds_write_b64 v108, v[4:5] offset:9600
	global_load_dwordx2 v[5:6], v[12:13], off offset:1760
	s_waitcnt vmcnt(0)
	buffer_store_dword v5, off, s[20:23], 0 offset:268 ; 4-byte Folded Spill
	buffer_store_dword v6, off, s[20:23], 0 offset:272 ; 4-byte Folded Spill
	v_mul_f32_e32 v4, v3, v6
	v_fmac_f32_e32 v4, v2, v5
	v_mul_f32_e32 v2, v2, v6
	v_add_co_u32 v6, vcc_lo, 0x3800, v198
	v_add_co_ci_u32_e32 v7, vcc_lo, 0, v199, vcc_lo
	v_fma_f32 v5, v3, v5, -v2
	global_load_dwordx2 v[2:3], v[0:1], off
	v_add_co_u32 v0, vcc_lo, v0, s3
	global_load_dwordx2 v[8:9], v[6:7], off offset:64
	ds_write_b64 v108, v[4:5] offset:12000
	v_add_co_ci_u32_e32 v1, vcc_lo, s2, v1, vcc_lo
	s_waitcnt vmcnt(0)
	buffer_store_dword v8, off, s[20:23], 0 offset:276 ; 4-byte Folded Spill
	buffer_store_dword v9, off, s[20:23], 0 offset:280 ; 4-byte Folded Spill
	v_mul_f32_e32 v4, v3, v9
	v_fmac_f32_e32 v4, v2, v8
	v_mul_f32_e32 v2, v2, v9
	v_fma_f32 v5, v3, v8, -v2
	global_load_dwordx2 v[2:3], v[0:1], off
	ds_write_b64 v108, v[4:5] offset:14400
	v_add_co_u32 v4, vcc_lo, 0x4000, v198
	v_add_co_ci_u32_e32 v5, vcc_lo, 0, v199, vcc_lo
	v_add_co_u32 v0, vcc_lo, v0, s3
	v_add_co_ci_u32_e32 v1, vcc_lo, s2, v1, vcc_lo
	global_load_dwordx2 v[253:254], v[4:5], off offset:416
	v_add_co_u32 v34, vcc_lo, 0x4800, v198
	v_add_co_ci_u32_e32 v35, vcc_lo, 0, v199, vcc_lo
	global_load_dwordx2 v[242:243], v[34:35], off offset:768
	s_waitcnt vmcnt(1)
	v_mul_f32_e32 v8, v3, v254
	v_fmac_f32_e32 v8, v2, v253
	v_mul_f32_e32 v2, v2, v254
	v_fma_f32 v9, v3, v253, -v2
	global_load_dwordx2 v[2:3], v[0:1], off
	v_add_co_u32 v0, vcc_lo, v0, s3
	v_add_co_ci_u32_e32 v1, vcc_lo, s2, v1, vcc_lo
	ds_write_b64 v108, v[8:9] offset:16800
	s_waitcnt vmcnt(0)
	v_mul_f32_e32 v8, v3, v243
	v_fmac_f32_e32 v8, v2, v242
	v_mul_f32_e32 v2, v2, v243
	v_fma_f32 v9, v3, v242, -v2
	global_load_dwordx2 v[2:3], v[0:1], off
	v_mad_u64_u32 v[0:1], null, 0xffffaec0, s4, v[0:1]
	ds_write_b64 v108, v[8:9] offset:19200
	v_add_co_u32 v8, vcc_lo, 0x5000, v198
	v_add_co_ci_u32_e32 v9, vcc_lo, 0, v199, vcc_lo
	v_add_nc_u32_e32 v1, s5, v1
	global_load_dwordx2 v[240:241], v[8:9], off offset:1120
	s_waitcnt vmcnt(0)
	v_mul_f32_e32 v22, v3, v241
	v_fmac_f32_e32 v22, v2, v240
	v_mul_f32_e32 v2, v2, v241
	v_fma_f32 v23, v3, v240, -v2
	ds_write_b64 v108, v[22:23] offset:21600
	global_load_dwordx2 v[2:3], v[0:1], off
	global_load_dwordx2 v[23:24], v108, s[8:9] offset:800
	v_add_co_u32 v0, vcc_lo, v0, s3
	v_add_co_ci_u32_e32 v1, vcc_lo, s2, v1, vcc_lo
	s_waitcnt vmcnt(0)
	buffer_store_dword v23, off, s[20:23], 0 offset:152 ; 4-byte Folded Spill
	buffer_store_dword v24, off, s[20:23], 0 offset:156 ; 4-byte Folded Spill
	v_mul_f32_e32 v22, v3, v24
	v_fmac_f32_e32 v22, v2, v23
	v_mul_f32_e32 v2, v2, v24
	v_fma_f32 v23, v3, v23, -v2
	ds_write2_b64 v108, v[18:19], v[22:23] offset1:100
	global_load_dwordx2 v[2:3], v[0:1], off
	global_load_dwordx2 v[18:19], v[10:11], off offset:1152
	v_add_co_u32 v0, vcc_lo, v0, s3
	v_add_co_ci_u32_e32 v1, vcc_lo, s2, v1, vcc_lo
	s_waitcnt vmcnt(0)
	buffer_store_dword v18, off, s[20:23], 0 offset:144 ; 4-byte Folded Spill
	buffer_store_dword v19, off, s[20:23], 0 offset:148 ; 4-byte Folded Spill
	v_mul_f32_e32 v32, v3, v19
	v_fmac_f32_e32 v32, v2, v18
	v_mul_f32_e32 v2, v2, v19
	v_fma_f32 v33, v3, v18, -v2
	global_load_dwordx2 v[2:3], v[0:1], off
	global_load_dwordx2 v[18:19], v[20:21], off offset:1504
	v_add_co_u32 v0, vcc_lo, v0, s3
	v_add_co_ci_u32_e32 v1, vcc_lo, s2, v1, vcc_lo
	s_waitcnt vmcnt(0)
	buffer_store_dword v18, off, s[20:23], 0 offset:136 ; 4-byte Folded Spill
	buffer_store_dword v19, off, s[20:23], 0 offset:140 ; 4-byte Folded Spill
	v_mul_f32_e32 v30, v3, v19
	v_fmac_f32_e32 v30, v2, v18
	v_mul_f32_e32 v2, v2, v19
	v_fma_f32 v31, v3, v18, -v2
	;; [unrolled: 11-line block ×3, first 2 shown]
	global_load_dwordx2 v[2:3], v[0:1], off
	global_load_dwordx2 v[18:19], v[12:13], off offset:160
	v_add_co_u32 v0, vcc_lo, v0, s3
	v_add_co_ci_u32_e32 v1, vcc_lo, s2, v1, vcc_lo
	v_add_co_u32 v26, vcc_lo, 0x3000, v198
	v_add_co_ci_u32_e32 v27, vcc_lo, 0, v199, vcc_lo
	s_waitcnt vmcnt(0)
	buffer_store_dword v18, off, s[20:23], 0 offset:120 ; 4-byte Folded Spill
	buffer_store_dword v19, off, s[20:23], 0 offset:124 ; 4-byte Folded Spill
	v_mul_f32_e32 v24, v3, v19
	v_fmac_f32_e32 v24, v2, v18
	v_mul_f32_e32 v2, v2, v19
	v_fma_f32 v25, v3, v18, -v2
	global_load_dwordx2 v[18:19], v[26:27], off offset:512
	global_load_dwordx2 v[2:3], v[0:1], off
	v_add_co_u32 v0, vcc_lo, v0, s3
	v_add_co_ci_u32_e32 v1, vcc_lo, s2, v1, vcc_lo
	s_waitcnt vmcnt(1)
	buffer_store_dword v18, off, s[20:23], 0 offset:104 ; 4-byte Folded Spill
	buffer_store_dword v19, off, s[20:23], 0 offset:108 ; 4-byte Folded Spill
	s_waitcnt vmcnt(0)
	v_mul_f32_e32 v22, v3, v19
	v_fmac_f32_e32 v22, v2, v18
	v_mul_f32_e32 v2, v2, v19
	v_fma_f32 v23, v3, v18, -v2
	global_load_dwordx2 v[2:3], v[0:1], off
	global_load_dwordx2 v[18:19], v[6:7], off offset:864
	v_add_co_u32 v0, vcc_lo, v0, s3
	v_add_co_ci_u32_e32 v1, vcc_lo, s2, v1, vcc_lo
	s_waitcnt vmcnt(0)
	buffer_store_dword v18, off, s[20:23], 0 offset:72 ; 4-byte Folded Spill
	buffer_store_dword v19, off, s[20:23], 0 offset:76 ; 4-byte Folded Spill
	v_mul_f32_e32 v20, v3, v19
	v_fmac_f32_e32 v20, v2, v18
	v_mul_f32_e32 v2, v2, v19
	v_fma_f32 v21, v3, v18, -v2
	global_load_dwordx2 v[2:3], v[0:1], off
	global_load_dwordx2 v[36:37], v[4:5], off offset:1216
	v_add_co_u32 v0, vcc_lo, v0, s3
	v_add_co_ci_u32_e32 v1, vcc_lo, s2, v1, vcc_lo
	s_waitcnt vmcnt(0)
	buffer_store_dword v36, off, s[20:23], 0 offset:64 ; 4-byte Folded Spill
	buffer_store_dword v37, off, s[20:23], 0 offset:68 ; 4-byte Folded Spill
	v_mul_f32_e32 v18, v3, v37
	v_fmac_f32_e32 v18, v2, v36
	v_mul_f32_e32 v2, v2, v37
	v_fma_f32 v19, v3, v36, -v2
	global_load_dwordx2 v[36:37], v[0:1], off
	global_load_dwordx2 v[34:35], v[34:35], off offset:1568
	s_waitcnt vmcnt(0)
	buffer_store_dword v34, off, s[20:23], 0 offset:40 ; 4-byte Folded Spill
	buffer_store_dword v35, off, s[20:23], 0 offset:44 ; 4-byte Folded Spill
	v_mul_f32_e32 v2, v37, v35
	v_mul_f32_e32 v3, v36, v35
	v_fmac_f32_e32 v2, v36, v34
	v_fma_f32 v3, v37, v34, -v3
	v_add_co_u32 v34, vcc_lo, v0, s3
	v_add_co_ci_u32_e32 v35, vcc_lo, s2, v1, vcc_lo
	global_load_dwordx2 v[36:37], v[34:35], off
	global_load_dwordx2 v[38:39], v[8:9], off offset:1920
	v_mad_u64_u32 v[34:35], null, 0xffffaec0, s4, v[34:35]
	s_mul_i32 s4, s1, 0x960
	s_waitcnt vmcnt(0)
	buffer_store_dword v38, off, s[20:23], 0 ; 4-byte Folded Spill
	buffer_store_dword v39, off, s[20:23], 0 offset:4 ; 4-byte Folded Spill
	v_add_nc_u32_e32 v35, s5, v35
	s_mul_hi_u32 s5, s0, 0x960
	s_add_i32 s4, s5, s4
	s_mul_i32 s5, s0, 0x960
	v_mul_f32_e32 v0, v37, v39
	v_mul_f32_e32 v1, v36, v39
	v_fmac_f32_e32 v0, v36, v38
	v_fma_f32 v1, v37, v38, -v1
	global_load_dwordx2 v[36:37], v[34:35], off
	global_load_dwordx2 v[39:40], v108, s[8:9] offset:1600
	v_add_co_u32 v34, vcc_lo, v34, s3
	v_add_co_ci_u32_e32 v35, vcc_lo, s2, v35, vcc_lo
	s_waitcnt vmcnt(0)
	buffer_store_dword v39, off, s[20:23], 0 offset:112 ; 4-byte Folded Spill
	buffer_store_dword v40, off, s[20:23], 0 offset:116 ; 4-byte Folded Spill
	v_mul_f32_e32 v38, v37, v40
	v_fmac_f32_e32 v38, v36, v39
	v_mul_f32_e32 v36, v36, v40
	v_fma_f32 v39, v37, v39, -v36
	ds_write_b64 v108, v[38:39] offset:1600
	global_load_dwordx2 v[36:37], v[34:35], off
	global_load_dwordx2 v[38:39], v[10:11], off offset:1952
	s_waitcnt vmcnt(0)
	buffer_store_dword v38, off, s[20:23], 0 offset:96 ; 4-byte Folded Spill
	buffer_store_dword v39, off, s[20:23], 0 offset:100 ; 4-byte Folded Spill
	;; [unrolled: 1-line block ×3, first 2 shown]
	v_mul_f32_e32 v10, v37, v39
	v_mul_f32_e32 v11, v36, v39
	v_fmac_f32_e32 v10, v36, v38
	v_fma_f32 v11, v37, v38, -v11
	ds_write2_b64 v235, v[32:33], v[10:11] offset0:144 offset1:244
	v_add_co_u32 v10, vcc_lo, v34, s3
	v_add_co_ci_u32_e32 v11, vcc_lo, s2, v35, vcc_lo
	global_load_dwordx2 v[32:33], v[10:11], off
	global_load_dwordx2 v[34:35], v[16:17], off offset:256
	v_add_co_u32 v10, vcc_lo, v10, s3
	v_add_co_ci_u32_e32 v11, vcc_lo, s2, v11, vcc_lo
	s_waitcnt vmcnt(0)
	buffer_store_dword v34, off, s[20:23], 0 offset:88 ; 4-byte Folded Spill
	buffer_store_dword v35, off, s[20:23], 0 offset:92 ; 4-byte Folded Spill
	v_mul_f32_e32 v16, v33, v35
	v_mul_f32_e32 v17, v32, v35
	v_fmac_f32_e32 v16, v32, v34
	v_fma_f32 v17, v33, v34, -v17
	v_add_nc_u32_e32 v32, 0x1400, v108
	ds_write2_b64 v32, v[30:31], v[16:17] offset0:60 offset1:160
	global_load_dwordx2 v[16:17], v[10:11], off
	global_load_dwordx2 v[30:31], v[14:15], off offset:608
	v_add_co_u32 v10, vcc_lo, v10, s3
	v_add_co_ci_u32_e32 v11, vcc_lo, s2, v11, vcc_lo
	s_waitcnt vmcnt(0)
	buffer_store_dword v30, off, s[20:23], 0 offset:80 ; 4-byte Folded Spill
	buffer_store_dword v31, off, s[20:23], 0 offset:84 ; 4-byte Folded Spill
	v_mul_f32_e32 v14, v17, v31
	v_mul_f32_e32 v15, v16, v31
	v_fmac_f32_e32 v14, v16, v30
	v_fma_f32 v15, v17, v30, -v15
	v_add_nc_u32_e32 v16, 0x1c00, v108
	ds_write2_b64 v16, v[28:29], v[14:15] offset0:104 offset1:204
	v_mov_b32_e32 v246, v16
	global_load_dwordx2 v[14:15], v[10:11], off
	global_load_dwordx2 v[16:17], v[12:13], off offset:960
	v_add_co_u32 v10, vcc_lo, v10, s3
	v_add_co_ci_u32_e32 v11, vcc_lo, s2, v11, vcc_lo
	s_waitcnt vmcnt(0)
	buffer_store_dword v16, off, s[20:23], 0 offset:32 ; 4-byte Folded Spill
	buffer_store_dword v17, off, s[20:23], 0 offset:36 ; 4-byte Folded Spill
	v_mul_f32_e32 v12, v15, v17
	v_mul_f32_e32 v13, v14, v17
	v_fmac_f32_e32 v12, v14, v16
	v_fma_f32 v13, v15, v16, -v13
	v_add_nc_u32_e32 v14, 0x2800, v108
	ds_write2_b64 v14, v[24:25], v[12:13] offset0:20 offset1:120
	global_load_dwordx2 v[12:13], v[10:11], off
	global_load_dwordx2 v[15:16], v[26:27], off offset:1312
	v_mov_b32_e32 v24, v14
	v_add_co_u32 v10, vcc_lo, v10, s3
	v_add_co_ci_u32_e32 v11, vcc_lo, s2, v11, vcc_lo
	v_mov_b32_e32 v100, v24
	s_waitcnt vmcnt(0)
	buffer_store_dword v15, off, s[20:23], 0 offset:8 ; 4-byte Folded Spill
	buffer_store_dword v16, off, s[20:23], 0 offset:12 ; 4-byte Folded Spill
	v_mov_b32_e32 v160, v100
	v_mov_b32_e32 v185, v160
	v_mul_f32_e32 v14, v13, v16
	v_fmac_f32_e32 v14, v12, v15
	v_mul_f32_e32 v12, v12, v16
	v_fma_f32 v15, v13, v15, -v12
	v_add_nc_u32_e32 v12, 0x3000, v108
	ds_write2_b64 v12, v[22:23], v[14:15] offset0:64 offset1:164
	v_mov_b32_e32 v17, v12
	global_load_dwordx2 v[12:13], v[10:11], off
	global_load_dwordx2 v[14:15], v[6:7], off offset:1664
	s_waitcnt vmcnt(0)
	buffer_store_dword v14, off, s[20:23], 0 offset:16 ; 4-byte Folded Spill
	buffer_store_dword v15, off, s[20:23], 0 offset:20 ; 4-byte Folded Spill
	v_mov_b32_e32 v99, v17
	v_mov_b32_e32 v159, v99
	v_mul_f32_e32 v6, v13, v15
	v_mul_f32_e32 v7, v12, v15
	v_fmac_f32_e32 v6, v12, v14
	v_fma_f32 v7, v13, v14, -v7
	v_add_nc_u32_e32 v12, 0x3800, v108
	ds_write2_b64 v12, v[20:21], v[6:7] offset0:108 offset1:208
	v_add_co_u32 v6, vcc_lo, v10, s3
	v_add_co_ci_u32_e32 v7, vcc_lo, s2, v11, vcc_lo
	v_mov_b32_e32 v14, v12
	global_load_dwordx2 v[10:11], v[6:7], off
	global_load_dwordx2 v[12:13], v[4:5], off offset:2016
	s_waitcnt vmcnt(0)
	buffer_store_dword v12, off, s[20:23], 0 offset:24 ; 4-byte Folded Spill
	buffer_store_dword v13, off, s[20:23], 0 offset:28 ; 4-byte Folded Spill
	v_mov_b32_e32 v98, v14
	v_mov_b32_e32 v158, v98
	;; [unrolled: 1-line block ×3, first 2 shown]
	v_mul_f32_e32 v4, v11, v13
	v_mul_f32_e32 v5, v10, v13
	v_fmac_f32_e32 v4, v10, v12
	v_fma_f32 v5, v11, v12, -v5
	ds_write2_b64 v245, v[18:19], v[4:5] offset0:152 offset1:252
	v_add_co_u32 v4, vcc_lo, v6, s3
	v_add_co_ci_u32_e32 v5, vcc_lo, s2, v7, vcc_lo
	global_load_dwordx2 v[6:7], v[4:5], off
	global_load_dwordx2 v[9:10], v[8:9], off offset:320
	s_waitcnt vmcnt(0)
	v_mul_f32_e32 v8, v7, v10
	v_fmac_f32_e32 v8, v6, v9
	buffer_store_dword v9, off, s[20:23], 0 offset:48 ; 4-byte Folded Spill
	buffer_store_dword v10, off, s[20:23], 0 offset:52 ; 4-byte Folded Spill
	v_mul_f32_e32 v6, v6, v10
	v_fma_f32 v9, v7, v9, -v6
	v_add_nc_u32_e32 v6, 0x4c00, v108
	ds_write2_b64 v6, v[2:3], v[8:9] offset0:68 offset1:168
	v_add_co_u32 v2, vcc_lo, v4, s3
	v_add_co_ci_u32_e32 v3, vcc_lo, s2, v5, vcc_lo
	v_add_co_u32 v180, vcc_lo, 0x5800, v198
	v_add_co_ci_u32_e32 v181, vcc_lo, 0, v199, vcc_lo
	global_load_dwordx2 v[2:3], v[2:3], off
	global_load_dwordx2 v[5:6], v[180:181], off offset:672
	s_waitcnt vmcnt(0)
	buffer_store_dword v5, off, s[20:23], 0 offset:56 ; 4-byte Folded Spill
	buffer_store_dword v6, off, s[20:23], 0 offset:60 ; 4-byte Folded Spill
	v_mul_f32_e32 v4, v3, v6
	v_fmac_f32_e32 v4, v2, v5
	v_mul_f32_e32 v2, v2, v6
	v_fma_f32 v5, v3, v5, -v2
	v_add_nc_u32_e32 v2, 0x5400, v108
	ds_write2_b64 v2, v[0:1], v[4:5] offset0:112 offset1:212
	v_mov_b32_e32 v16, v2
	s_waitcnt lgkmcnt(0)
	s_waitcnt_vscnt null, 0x0
	s_barrier
	buffer_gl0_inv
	ds_read2_b64 v[71:74], v108 offset1:100
	ds_read2_b64 v[0:3], v236 offset0:72 offset1:172
	ds_read2_b64 v[75:78], v238 offset0:88 offset1:188
	;; [unrolled: 1-line block ×7, first 2 shown]
	v_add_nc_u32_e32 v4, 0x3c00, v108
	v_mov_b32_e32 v96, v16
	ds_read2_b64 v[44:47], v4 offset0:80 offset1:180
	v_mov_b32_e32 v91, v4
	v_add_nc_u32_e32 v4, 0x5000, v108
	v_mov_b32_e32 v156, v96
	ds_read2_b64 v[48:51], v4 offset0:40 offset1:140
	v_mov_b32_e32 v97, v4
	ds_read2_b64 v[4:7], v235 offset0:144 offset1:244
	ds_read2_b64 v[28:31], v246 offset0:104 offset1:204
	;; [unrolled: 1-line block ×5, first 2 shown]
	s_waitcnt lgkmcnt(10)
	v_sub_f32_e32 v21, v75, v79
	v_add_f32_e32 v16, v71, v75
	s_waitcnt lgkmcnt(8)
	v_add_f32_e32 v17, v79, v60
	s_waitcnt lgkmcnt(7)
	v_sub_f32_e32 v18, v76, v65
	v_sub_f32_e32 v20, v80, v61
	;; [unrolled: 1-line block ×3, first 2 shown]
	v_add_f32_e32 v16, v16, v79
	v_fma_f32 v17, -0.5, v17, v71
	v_sub_f32_e32 v26, v54, v58
	s_waitcnt lgkmcnt(6)
	v_sub_f32_e32 v24, v59, v47
	v_add_f32_e32 v21, v21, v22
	v_sub_f32_e32 v22, v60, v64
	v_fmamk_f32 v19, v18, 0x3f737871, v17
	v_fmac_f32_e32 v17, 0xbf737871, v18
	v_add_f32_e32 v16, v16, v60
	v_sub_f32_e32 v38, v55, v59
	s_waitcnt lgkmcnt(5)
	v_sub_f32_e32 v36, v50, v46
	v_fmac_f32_e32 v19, 0x3f167918, v20
	v_fmac_f32_e32 v17, 0xbf167918, v20
	v_add_f32_e32 v16, v16, v64
	v_sub_f32_e32 v37, v46, v50
	v_add_f32_e32 v26, v26, v36
	v_fmac_f32_e32 v19, 0x3e9e377a, v21
	v_fmac_f32_e32 v17, 0x3e9e377a, v21
	v_add_f32_e32 v21, v75, v64
	v_sub_f32_e32 v36, v58, v54
	v_sub_f32_e32 v39, v51, v47
	;; [unrolled: 1-line block ×3, first 2 shown]
	s_waitcnt lgkmcnt(0)
	v_fma_f32 v23, -0.5, v21, v71
	v_sub_f32_e32 v21, v79, v75
	v_add_f32_e32 v36, v36, v37
	v_add_f32_e32 v38, v38, v39
	s_barrier
	v_fmamk_f32 v25, v20, 0xbf737871, v23
	v_fmac_f32_e32 v23, 0x3f737871, v20
	v_add_f32_e32 v21, v21, v22
	v_sub_f32_e32 v20, v79, v60
	v_sub_f32_e32 v22, v65, v61
	v_fmac_f32_e32 v25, 0x3f167918, v18
	v_fmac_f32_e32 v23, 0xbf167918, v18
	v_add_f32_e32 v18, v72, v76
	buffer_gl0_inv
	v_mov_b32_e32 v157, v97
	v_fmac_f32_e32 v25, 0x3e9e377a, v21
	v_fmac_f32_e32 v23, 0x3e9e377a, v21
	v_add_f32_e32 v18, v18, v80
	v_sub_f32_e32 v21, v76, v80
	v_mov_b32_e32 v183, v156
	v_add_f32_e32 v18, v18, v61
	v_add_f32_e32 v21, v21, v22
	v_sub_f32_e32 v22, v61, v65
	v_add_f32_e32 v27, v18, v65
	v_add_f32_e32 v18, v80, v61
	v_fma_f32 v68, -0.5, v18, v72
	v_sub_f32_e32 v18, v75, v64
	v_fmamk_f32 v64, v18, 0xbf737871, v68
	v_fmac_f32_e32 v68, 0x3f737871, v18
	v_fmac_f32_e32 v64, 0xbf167918, v20
	;; [unrolled: 1-line block ×5, first 2 shown]
	v_add_f32_e32 v21, v76, v65
	v_fma_f32 v60, -0.5, v21, v72
	v_sub_f32_e32 v21, v80, v76
	v_fmamk_f32 v69, v20, 0x3f737871, v60
	v_fmac_f32_e32 v60, 0xbf737871, v20
	v_add_f32_e32 v21, v21, v22
	v_add_f32_e32 v20, v58, v46
	v_fmac_f32_e32 v69, 0xbf167918, v18
	v_fmac_f32_e32 v60, 0x3f167918, v18
	v_add_f32_e32 v18, v2, v54
	v_fmac_f32_e32 v69, 0x3e9e377a, v21
	v_fmac_f32_e32 v60, 0x3e9e377a, v21
	v_fma_f32 v21, -0.5, v20, v2
	v_sub_f32_e32 v20, v55, v51
	v_add_f32_e32 v18, v18, v58
	v_fmamk_f32 v22, v20, 0x3f737871, v21
	v_fmac_f32_e32 v21, 0xbf737871, v20
	v_add_f32_e32 v18, v18, v46
	v_fmac_f32_e32 v22, 0x3f167918, v24
	v_fmac_f32_e32 v21, 0xbf167918, v24
	v_add_f32_e32 v18, v18, v50
	v_fmac_f32_e32 v22, 0x3e9e377a, v26
	v_fmac_f32_e32 v21, 0x3e9e377a, v26
	v_add_f32_e32 v26, v54, v50
	v_fma_f32 v2, -0.5, v26, v2
	v_fmamk_f32 v26, v24, 0xbf737871, v2
	v_fmac_f32_e32 v2, 0x3f737871, v24
	v_fmac_f32_e32 v26, 0x3f167918, v20
	v_fmac_f32_e32 v2, 0xbf167918, v20
	v_add_f32_e32 v20, v3, v55
	v_fmac_f32_e32 v26, 0x3e9e377a, v36
	v_fmac_f32_e32 v2, 0x3e9e377a, v36
	v_add_f32_e32 v20, v20, v59
	v_sub_f32_e32 v36, v58, v46
	v_mul_f32_e32 v46, 0x3f4f1bbd, v22
	v_sub_f32_e32 v58, v62, v66
	v_add_f32_e32 v20, v20, v47
	v_add_f32_e32 v61, v20, v51
	v_add_f32_e32 v20, v59, v47
	v_add_f32_e32 v41, v27, v61
	v_fma_f32 v24, -0.5, v20, v3
	v_sub_f32_e32 v20, v54, v50
	v_mul_f32_e32 v50, 0xbe9e377a, v2
	v_mul_f32_e32 v54, 0xbf167918, v22
	v_sub_f32_e32 v22, v16, v18
	v_fmamk_f32 v37, v20, 0xbf737871, v24
	v_fmac_f32_e32 v24, 0x3f737871, v20
	v_fmac_f32_e32 v37, 0xbf167918, v36
	;; [unrolled: 1-line block ×5, first 2 shown]
	v_add_f32_e32 v38, v55, v51
	v_mul_f32_e32 v51, 0xbf4f1bbd, v21
	v_fmac_f32_e32 v46, 0x3f167918, v37
	v_fmac_f32_e32 v54, 0x3f4f1bbd, v37
	v_fma_f32 v3, -0.5, v38, v3
	v_sub_f32_e32 v38, v59, v55
	v_fmac_f32_e32 v51, 0x3f167918, v24
	v_mul_f32_e32 v55, 0xbf737871, v26
	v_add_f32_e32 v42, v19, v46
	v_fmamk_f32 v39, v36, 0x3f737871, v3
	v_fmac_f32_e32 v3, 0xbf737871, v36
	v_add_f32_e32 v38, v38, v40
	v_add_f32_e32 v40, v16, v18
	v_sub_f32_e32 v18, v17, v51
	v_fmac_f32_e32 v39, 0xbf167918, v20
	v_fmac_f32_e32 v3, 0x3f167918, v20
	v_add_f32_e32 v20, v17, v51
	v_sub_f32_e32 v51, v78, v67
	v_add_f32_e32 v43, v64, v54
	v_fmac_f32_e32 v39, 0x3e9e377a, v38
	v_fmac_f32_e32 v3, 0x3e9e377a, v38
	v_sub_f32_e32 v59, v78, v82
	v_mul_f32_e32 v47, 0x3f737871, v39
	v_fmac_f32_e32 v50, 0x3f737871, v3
	v_mul_f32_e32 v3, 0xbe9e377a, v3
	v_fmac_f32_e32 v55, 0x3e9e377a, v39
	v_fmac_f32_e32 v47, 0x3e9e377a, v26
	v_add_f32_e32 v38, v23, v50
	v_fmac_f32_e32 v3, 0xbf737871, v2
	v_mul_f32_e32 v2, 0xbf4f1bbd, v24
	v_sub_f32_e32 v24, v19, v46
	v_add_f32_e32 v36, v25, v47
	v_sub_f32_e32 v26, v25, v47
	v_add_f32_e32 v39, v60, v3
	;; [unrolled: 2-line block ×3, first 2 shown]
	v_sub_f32_e32 v16, v23, v50
	v_sub_f32_e32 v25, v64, v54
	;; [unrolled: 1-line block ×4, first 2 shown]
	v_fma_f32 v3, -0.5, v3, v73
	v_sub_f32_e32 v50, v66, v62
	v_add_f32_e32 v37, v69, v55
	v_sub_f32_e32 v23, v27, v61
	v_sub_f32_e32 v27, v69, v55
	v_fmamk_f32 v46, v51, 0x3f737871, v3
	v_fmac_f32_e32 v3, 0xbf737871, v51
	v_add_f32_e32 v47, v47, v50
	v_sub_f32_e32 v55, v81, v77
	v_sub_f32_e32 v60, v67, v63
	v_fmac_f32_e32 v46, 0x3f167918, v54
	v_fmac_f32_e32 v3, 0xbf167918, v54
	;; [unrolled: 1-line block ×3, first 2 shown]
	v_add_f32_e32 v55, v55, v58
	v_sub_f32_e32 v58, v81, v62
	v_fmac_f32_e32 v46, 0x3e9e377a, v47
	v_fmac_f32_e32 v3, 0x3e9e377a, v47
	v_add_f32_e32 v47, v77, v66
	v_add_f32_e32 v59, v59, v60
	v_sub_f32_e32 v60, v63, v67
	v_add_f32_e32 v21, v68, v2
	v_sub_f32_e32 v19, v68, v2
	v_fma_f32 v47, -0.5, v47, v73
	v_add_f32_e32 v2, v73, v77
	v_sub_f32_e32 v61, v33, v9
	v_sub_f32_e32 v64, v8, v12
	v_fmamk_f32 v50, v54, 0xbf737871, v47
	v_fmac_f32_e32 v47, 0x3f737871, v54
	v_add_f32_e32 v54, v82, v63
	v_add_f32_e32 v2, v2, v81
	v_fmac_f32_e32 v50, 0x3f167918, v51
	v_fmac_f32_e32 v47, 0xbf167918, v51
	v_fma_f32 v54, -0.5, v54, v74
	v_add_f32_e32 v51, v74, v78
	v_add_f32_e32 v2, v2, v62
	v_fmac_f32_e32 v50, 0x3e9e377a, v55
	v_fmac_f32_e32 v47, 0x3e9e377a, v55
	v_sub_f32_e32 v55, v77, v66
	v_add_f32_e32 v51, v51, v82
	v_sub_f32_e32 v62, v28, v32
	v_add_f32_e32 v2, v2, v66
	v_fmamk_f32 v65, v55, 0xbf737871, v54
	v_fmac_f32_e32 v54, 0x3f737871, v55
	v_add_f32_e32 v51, v51, v63
	v_sub_f32_e32 v63, v12, v8
	v_fmac_f32_e32 v65, 0xbf167918, v58
	v_fmac_f32_e32 v54, 0x3f167918, v58
	v_add_f32_e32 v51, v51, v67
	v_add_f32_e32 v62, v62, v63
	v_sub_f32_e32 v63, v32, v28
	v_fmac_f32_e32 v65, 0x3e9e377a, v59
	v_fmac_f32_e32 v54, 0x3e9e377a, v59
	v_add_f32_e32 v59, v78, v67
	v_add_f32_e32 v63, v63, v64
	v_fmac_f32_e32 v74, -0.5, v59
	v_sub_f32_e32 v59, v82, v78
	v_fmamk_f32 v75, v58, 0x3f737871, v74
	v_fmac_f32_e32 v74, 0xbf737871, v58
	v_add_f32_e32 v59, v59, v60
	v_add_f32_e32 v58, v32, v8
	v_fmac_f32_e32 v75, 0xbf167918, v55
	v_fmac_f32_e32 v74, 0x3f167918, v55
	v_add_f32_e32 v55, v4, v28
	v_fmac_f32_e32 v75, 0x3e9e377a, v59
	v_fmac_f32_e32 v74, 0x3e9e377a, v59
	v_fma_f32 v59, -0.5, v58, v4
	v_sub_f32_e32 v58, v29, v13
	v_add_f32_e32 v55, v55, v32
	v_fmamk_f32 v60, v58, 0x3f737871, v59
	v_fmac_f32_e32 v59, 0xbf737871, v58
	v_add_f32_e32 v55, v55, v8
	v_sub_f32_e32 v8, v32, v8
	v_sub_f32_e32 v32, v29, v33
	v_fmac_f32_e32 v60, 0x3f167918, v61
	v_fmac_f32_e32 v59, 0xbf167918, v61
	v_add_f32_e32 v55, v55, v12
	v_fmac_f32_e32 v60, 0x3e9e377a, v62
	v_fmac_f32_e32 v59, 0x3e9e377a, v62
	v_add_f32_e32 v62, v28, v12
	v_sub_f32_e32 v12, v28, v12
	v_add_f32_e32 v70, v2, v55
	v_fma_f32 v4, -0.5, v62, v4
	v_fmamk_f32 v62, v61, 0xbf737871, v4
	v_fmac_f32_e32 v4, 0x3f737871, v61
	v_fmac_f32_e32 v62, 0x3f167918, v58
	;; [unrolled: 1-line block ×3, first 2 shown]
	v_add_f32_e32 v58, v5, v29
	v_fmac_f32_e32 v62, 0x3e9e377a, v63
	v_fmac_f32_e32 v4, 0x3e9e377a, v63
	v_add_f32_e32 v58, v58, v33
	v_add_f32_e32 v58, v58, v9
	v_add_f32_e32 v61, v58, v13
	v_add_f32_e32 v58, v33, v9
	v_add_f32_e32 v71, v51, v61
	v_fma_f32 v63, -0.5, v58, v5
	v_sub_f32_e32 v58, v13, v9
	v_sub_f32_e32 v9, v9, v13
	;; [unrolled: 1-line block ×3, first 2 shown]
	v_fmamk_f32 v28, v12, 0xbf737871, v63
	v_fmac_f32_e32 v63, 0x3f737871, v12
	v_add_f32_e32 v32, v32, v58
	v_fmac_f32_e32 v28, 0xbf167918, v8
	v_fmac_f32_e32 v63, 0x3f167918, v8
	;; [unrolled: 1-line block ×4, first 2 shown]
	v_add_f32_e32 v32, v29, v13
	v_sub_f32_e32 v29, v33, v29
	v_mul_f32_e32 v13, 0xbf4f1bbd, v59
	v_sub_f32_e32 v33, v44, v48
	v_fma_f32 v5, -0.5, v32, v5
	v_add_f32_e32 v9, v29, v9
	v_mul_f32_e32 v29, 0xbf167918, v60
	v_fmac_f32_e32 v13, 0x3f167918, v63
	v_fmamk_f32 v32, v8, 0x3f737871, v5
	v_fmac_f32_e32 v5, 0xbf737871, v8
	v_mul_f32_e32 v8, 0x3f4f1bbd, v60
	v_fmac_f32_e32 v29, 0x3f4f1bbd, v28
	v_sub_f32_e32 v60, v2, v55
	v_fmac_f32_e32 v32, 0xbf167918, v12
	v_fmac_f32_e32 v5, 0x3f167918, v12
	;; [unrolled: 1-line block ×3, first 2 shown]
	v_mul_f32_e32 v28, 0xbf737871, v62
	v_mul_f32_e32 v12, 0xbe9e377a, v4
	v_fmac_f32_e32 v32, 0x3e9e377a, v9
	v_fmac_f32_e32 v5, 0x3e9e377a, v9
	v_add_f32_e32 v72, v46, v8
	v_add_f32_e32 v58, v3, v13
	;; [unrolled: 1-line block ×3, first 2 shown]
	v_mul_f32_e32 v9, 0x3f737871, v32
	v_fmac_f32_e32 v12, 0x3f737871, v5
	v_fmac_f32_e32 v28, 0x3e9e377a, v32
	v_mul_f32_e32 v5, 0xbe9e377a, v5
	v_mul_f32_e32 v32, 0xbf4f1bbd, v63
	v_fmac_f32_e32 v9, 0x3e9e377a, v62
	v_sub_f32_e32 v62, v46, v8
	v_add_f32_e32 v8, v0, v52
	v_add_f32_e32 v68, v47, v12
	v_fmac_f32_e32 v5, 0xbf737871, v4
	v_add_f32_e32 v66, v50, v9
	v_sub_f32_e32 v64, v50, v9
	v_add_f32_e32 v8, v8, v56
	v_fmac_f32_e32 v32, 0xbf167918, v59
	v_sub_f32_e32 v2, v47, v12
	v_sub_f32_e32 v12, v53, v49
	v_add_f32_e32 v67, v75, v28
	v_add_f32_e32 v8, v8, v44
	;; [unrolled: 1-line block ×4, first 2 shown]
	v_sub_f32_e32 v4, v3, v13
	v_sub_f32_e32 v63, v65, v29
	v_add_f32_e32 v9, v8, v48
	v_add_f32_e32 v8, v56, v44
	v_sub_f32_e32 v65, v75, v28
	v_sub_f32_e32 v3, v74, v5
	;; [unrolled: 1-line block ×4, first 2 shown]
	v_fma_f32 v8, -0.5, v8, v0
	v_sub_f32_e32 v29, v52, v56
	v_sub_f32_e32 v32, v48, v44
	;; [unrolled: 1-line block ×3, first 2 shown]
	v_fmamk_f32 v13, v12, 0x3f737871, v8
	v_fmac_f32_e32 v8, 0xbf737871, v12
	v_add_f32_e32 v29, v29, v32
	v_sub_f32_e32 v32, v56, v52
	v_fmac_f32_e32 v13, 0x3f167918, v28
	v_fmac_f32_e32 v8, 0xbf167918, v28
	v_add_f32_e32 v32, v32, v33
	v_sub_f32_e32 v33, v49, v45
	v_fmac_f32_e32 v13, 0x3e9e377a, v29
	v_fmac_f32_e32 v8, 0x3e9e377a, v29
	v_add_f32_e32 v29, v52, v48
	v_fma_f32 v0, -0.5, v29, v0
	v_fmamk_f32 v29, v28, 0xbf737871, v0
	v_fmac_f32_e32 v0, 0x3f737871, v28
	v_sub_f32_e32 v28, v56, v44
	v_sub_f32_e32 v44, v35, v11
	v_fmac_f32_e32 v29, 0x3f167918, v12
	v_fmac_f32_e32 v0, 0xbf167918, v12
	v_add_f32_e32 v12, v1, v53
	v_fmac_f32_e32 v29, 0x3e9e377a, v32
	v_fmac_f32_e32 v0, 0x3e9e377a, v32
	v_add_f32_e32 v12, v12, v57
	v_sub_f32_e32 v32, v53, v57
	v_add_f32_e32 v12, v12, v45
	v_add_f32_e32 v32, v32, v33
	v_sub_f32_e32 v33, v45, v49
	v_add_f32_e32 v50, v12, v49
	v_add_f32_e32 v12, v57, v45
	v_sub_f32_e32 v45, v30, v34
	v_fma_f32 v51, -0.5, v12, v1
	v_sub_f32_e32 v12, v52, v48
	v_add_f32_e32 v45, v45, v46
	v_sub_f32_e32 v46, v10, v14
	v_fmamk_f32 v48, v12, 0xbf737871, v51
	v_fmac_f32_e32 v51, 0x3f737871, v12
	v_fmac_f32_e32 v48, 0xbf167918, v28
	;; [unrolled: 1-line block ×5, first 2 shown]
	v_add_f32_e32 v32, v53, v49
	v_fmac_f32_e32 v1, -0.5, v32
	v_sub_f32_e32 v32, v57, v53
	v_fmamk_f32 v52, v28, 0x3f737871, v1
	v_fmac_f32_e32 v1, 0xbf737871, v28
	v_add_f32_e32 v32, v32, v33
	v_add_f32_e32 v28, v34, v10
	v_fmac_f32_e32 v52, 0xbf167918, v12
	v_fmac_f32_e32 v1, 0x3f167918, v12
	v_add_f32_e32 v12, v6, v30
	v_fma_f32 v28, -0.5, v28, v6
	v_fmac_f32_e32 v52, 0x3e9e377a, v32
	v_fmac_f32_e32 v1, 0x3e9e377a, v32
	v_sub_f32_e32 v32, v31, v15
	v_add_f32_e32 v12, v12, v34
	v_fmamk_f32 v33, v32, 0x3f737871, v28
	v_fmac_f32_e32 v28, 0xbf737871, v32
	v_add_f32_e32 v12, v12, v10
	v_sub_f32_e32 v10, v34, v10
	v_fmac_f32_e32 v33, 0x3f167918, v44
	v_fmac_f32_e32 v28, 0xbf167918, v44
	v_add_f32_e32 v12, v12, v14
	v_fmac_f32_e32 v33, 0x3e9e377a, v45
	v_fmac_f32_e32 v28, 0x3e9e377a, v45
	v_add_f32_e32 v45, v30, v14
	v_sub_f32_e32 v14, v30, v14
	v_mul_f32_e32 v57, 0xbf167918, v33
	v_mul_f32_e32 v56, 0xbf4f1bbd, v28
	v_fma_f32 v6, -0.5, v45, v6
	v_sub_f32_e32 v45, v34, v30
	v_sub_f32_e32 v34, v15, v11
	v_fmamk_f32 v49, v44, 0xbf737871, v6
	v_fmac_f32_e32 v6, 0x3f737871, v44
	v_add_f32_e32 v45, v45, v46
	v_add_f32_e32 v44, v9, v12
	v_sub_f32_e32 v12, v9, v12
	v_fmac_f32_e32 v49, 0x3f167918, v32
	v_fmac_f32_e32 v6, 0xbf167918, v32
	v_add_f32_e32 v32, v7, v31
	v_fmac_f32_e32 v49, 0x3e9e377a, v45
	v_fmac_f32_e32 v6, 0x3e9e377a, v45
	v_add_f32_e32 v32, v32, v35
	v_add_f32_e32 v32, v32, v11
	;; [unrolled: 1-line block ×4, first 2 shown]
	v_sub_f32_e32 v11, v11, v15
	v_add_f32_e32 v45, v50, v53
	v_fma_f32 v54, -0.5, v32, v7
	v_sub_f32_e32 v32, v31, v35
	v_fmamk_f32 v30, v14, 0xbf737871, v54
	v_fmac_f32_e32 v54, 0x3f737871, v14
	v_add_f32_e32 v32, v32, v34
	v_fmac_f32_e32 v30, 0xbf167918, v10
	v_fmac_f32_e32 v54, 0x3f167918, v10
	v_fmac_f32_e32 v30, 0x3e9e377a, v32
	v_fmac_f32_e32 v54, 0x3e9e377a, v32
	v_add_f32_e32 v32, v31, v15
	v_sub_f32_e32 v31, v35, v31
	v_fmac_f32_e32 v57, 0x3f4f1bbd, v30
	v_fmac_f32_e32 v56, 0x3f167918, v54
	v_fmac_f32_e32 v7, -0.5, v32
	v_add_f32_e32 v11, v31, v11
	v_mul_f32_e32 v31, 0xbe9e377a, v6
	v_mul_f32_e32 v54, 0xbf4f1bbd, v54
	v_add_f32_e32 v47, v48, v57
	v_fmamk_f32 v55, v10, 0x3f737871, v7
	v_fmac_f32_e32 v7, 0xbf737871, v10
	v_add_f32_e32 v10, v8, v56
	v_fmac_f32_e32 v54, 0xbf167918, v28
	v_sub_f32_e32 v8, v8, v56
	v_fmac_f32_e32 v55, 0xbf167918, v14
	v_fmac_f32_e32 v7, 0x3f167918, v14
	v_mul_f32_e32 v14, 0x3f4f1bbd, v33
	v_sub_f32_e32 v9, v51, v54
	v_fmac_f32_e32 v55, 0x3e9e377a, v11
	v_fmac_f32_e32 v7, 0x3e9e377a, v11
	;; [unrolled: 1-line block ×3, first 2 shown]
	v_add_f32_e32 v11, v51, v54
	v_mul_f32_e32 v15, 0x3f737871, v55
	v_fmac_f32_e32 v31, 0x3f737871, v7
	v_mul_f32_e32 v7, 0xbe9e377a, v7
	v_add_f32_e32 v46, v13, v14
	v_sub_f32_e32 v28, v13, v14
	v_fmac_f32_e32 v15, 0x3e9e377a, v49
	v_add_f32_e32 v34, v0, v31
	v_fmac_f32_e32 v7, 0xbf737871, v6
	v_sub_f32_e32 v6, v0, v31
	v_mul_lo_u16 v0, v112, 10
	v_mul_f32_e32 v49, 0xbf737871, v49
	v_add_f32_e32 v32, v29, v15
	v_add_f32_e32 v35, v1, v7
	v_sub_f32_e32 v13, v50, v53
	v_lshlrev_b32_sdwa v109, v148, v0 dst_sel:DWORD dst_unused:UNUSED_PAD src0_sel:DWORD src1_sel:WORD_0
	v_mul_u32_u24_e32 v0, 10, v114
	ds_write_b128 v109, v[40:43]
	ds_write_b128 v109, v[36:39] offset:16
	ds_write_b128 v109, v[20:23] offset:32
	;; [unrolled: 1-line block ×4, first 2 shown]
	v_lshlrev_b32_e32 v247, 3, v0
	v_mul_u32_u24_e32 v0, 10, v113
	ds_write_b128 v247, v[70:73]
	ds_write_b128 v247, v[66:69] offset:16
	ds_write_b128 v247, v[58:61] offset:32
	;; [unrolled: 1-line block ×4, first 2 shown]
	v_lshlrev_b32_e32 v234, 3, v0
	v_mul_lo_u16 v0, 0xcd, v116
	v_mul_lo_u16 v4, 0xcd, v115
	v_fmac_f32_e32 v49, 0x3e9e377a, v55
	v_sub_f32_e32 v30, v29, v15
	v_sub_f32_e32 v29, v48, v57
	v_lshrrev_b16 v102, 11, v0
	v_lshrrev_b16 v105, 11, v4
	v_add_f32_e32 v33, v52, v49
	v_sub_f32_e32 v31, v52, v49
	v_sub_f32_e32 v7, v1, v7
	v_mul_lo_u16 v0, v102, 10
	v_mul_lo_u16 v4, v105, 10
	ds_write_b128 v234, v[44:47]
	ds_write_b128 v234, v[32:35] offset:16
	ds_write_b128 v234, v[10:13] offset:32
	;; [unrolled: 1-line block ×4, first 2 shown]
	s_waitcnt lgkmcnt(0)
	s_barrier
	v_sub_nc_u16 v0, v112, v0
	v_sub_nc_u16 v4, v114, v4
	buffer_gl0_inv
	ds_read2_b64 v[56:59], v108 offset1:100
	ds_read2_b64 v[6:9], v246 offset0:104 offset1:204
	ds_read2_b64 v[10:13], v91 offset0:80 offset1:180
	;; [unrolled: 1-line block ×6, first 2 shown]
	v_and_b32_e32 v103, 0xff, v0
	v_and_b32_e32 v107, 0xff, v4
	ds_read2_b64 v[26:29], v100 offset0:120 offset1:220
	ds_read2_b64 v[22:25], v244 offset0:96 offset1:196
	;; [unrolled: 1-line block ×6, first 2 shown]
	v_lshlrev_b32_e32 v0, 4, v103
	v_lshlrev_b32_e32 v4, 4, v107
	v_mov_b32_e32 v38, 0xcccd
	ds_read2_b64 v[64:67], v98 offset0:8 offset1:108
	ds_read2_b64 v[60:63], v96 offset0:112 offset1:212
	s_clause 0x1
	global_load_dwordx4 v[220:223], v0, s[10:11]
	global_load_dwordx4 v[216:219], v4, s[10:11]
	v_mov_b32_e32 v5, v91
	v_mov_b32_e32 v4, v159
	;; [unrolled: 1-line block ×3, first 2 shown]
	s_waitcnt vmcnt(1) lgkmcnt(12)
	v_mul_f32_e32 v2, v11, v223
	v_mul_f32_e32 v68, v10, v223
	s_waitcnt vmcnt(0)
	v_mul_f32_e32 v70, v8, v217
	v_mul_f32_e32 v72, v12, v219
	;; [unrolled: 1-line block ×3, first 2 shown]
	v_fma_f32 v2, v10, v222, -v2
	v_mul_f32_e32 v10, v9, v217
	v_fmac_f32_e32 v68, v11, v222
	v_fmac_f32_e32 v70, v9, v216
	;; [unrolled: 1-line block ×3, first 2 shown]
	v_fma_f32 v0, v6, v220, -v0
	v_fma_f32 v69, v8, v216, -v10
	v_mul_f32_e32 v8, v13, v219
	v_mul_f32_e32 v3, v6, v221
	v_mov_b32_e32 v6, v246
	v_fma_f32 v71, v12, v218, -v8
	v_mul_u32_u24_sdwa v8, v113, v38 dst_sel:DWORD dst_unused:UNUSED_PAD src0_sel:WORD_0 src1_sel:DWORD
	v_fmac_f32_e32 v3, v7, v220
	v_mov_b32_e32 v7, v157
	v_lshrrev_b32_e32 v117, 19, v8
	v_mul_lo_u16 v8, v117, 10
	v_sub_nc_u16 v118, v113, v8
	v_lshlrev_b16 v8, 1, v118
	v_lshlrev_b32_sdwa v8, v148, v8 dst_sel:DWORD dst_unused:UNUSED_PAD src0_sel:DWORD src1_sel:WORD_0
	global_load_dwordx4 v[8:11], v8, s[10:11]
	s_waitcnt vmcnt(0) lgkmcnt(10)
	v_mul_f32_e32 v12, v15, v9
	v_mul_f32_e32 v74, v14, v9
	s_waitcnt lgkmcnt(9)
	v_mul_f32_e32 v76, v18, v11
	v_fma_f32 v73, v14, v8, -v12
	v_mul_f32_e32 v12, v19, v11
	v_fmac_f32_e32 v74, v15, v8
	v_fmac_f32_e32 v76, v19, v10
	v_fma_f32 v75, v18, v10, -v12
	v_mul_u32_u24_sdwa v12, v85, v38 dst_sel:DWORD dst_unused:UNUSED_PAD src0_sel:WORD_0 src1_sel:DWORD
	v_lshrrev_b32_e32 v121, 19, v12
	v_mul_lo_u16 v12, v121, 10
	v_sub_nc_u16 v122, v85, v12
	v_lshlrev_b16 v12, 1, v122
	v_lshlrev_b32_sdwa v12, v148, v12 dst_sel:DWORD dst_unused:UNUSED_PAD src0_sel:DWORD src1_sel:WORD_0
	global_load_dwordx4 v[12:15], v12, s[10:11]
	s_waitcnt vmcnt(0)
	v_mul_f32_e32 v18, v17, v13
	v_mul_f32_e32 v78, v16, v13
	v_mul_f32_e32 v110, v20, v15
	v_fma_f32 v77, v16, v12, -v18
	v_mul_f32_e32 v16, v21, v15
	v_fmac_f32_e32 v78, v17, v12
	v_fmac_f32_e32 v110, v21, v14
	v_fma_f32 v79, v20, v14, -v16
	v_mul_u32_u24_sdwa v16, v87, v38 dst_sel:DWORD dst_unused:UNUSED_PAD src0_sel:WORD_0 src1_sel:DWORD
	v_lshrrev_b32_e32 v100, 19, v16
	v_mul_lo_u16 v16, v100, 10
	v_sub_nc_u16 v101, v87, v16
	v_lshlrev_b16 v16, 1, v101
	v_lshlrev_b32_sdwa v16, v148, v16 dst_sel:DWORD dst_unused:UNUSED_PAD src0_sel:DWORD src1_sel:WORD_0
	global_load_dwordx4 v[16:19], v16, s[10:11]
	s_waitcnt vmcnt(0) lgkmcnt(7)
	v_mul_f32_e32 v20, v27, v17
	s_waitcnt lgkmcnt(6)
	v_mul_f32_e32 v131, v22, v19
	v_mul_f32_e32 v129, v26, v17
	v_fma_f32 v111, v26, v16, -v20
	v_mul_f32_e32 v20, v23, v19
	v_fmac_f32_e32 v131, v23, v18
	v_fmac_f32_e32 v129, v27, v16
	v_fma_f32 v130, v22, v18, -v20
	v_mul_u32_u24_sdwa v20, v89, v38 dst_sel:DWORD dst_unused:UNUSED_PAD src0_sel:WORD_0 src1_sel:DWORD
	v_lshrrev_b32_e32 v104, 19, v20
	v_mul_lo_u16 v20, v104, 10
	v_sub_nc_u16 v106, v89, v20
	v_lshlrev_b16 v20, 1, v106
	v_lshlrev_b32_sdwa v20, v148, v20 dst_sel:DWORD dst_unused:UNUSED_PAD src0_sel:DWORD src1_sel:WORD_0
	global_load_dwordx4 v[20:23], v20, s[10:11]
	s_waitcnt vmcnt(0)
	v_mul_f32_e32 v26, v29, v21
	v_mul_f32_e32 v135, v24, v23
	v_mul_f32_e32 v133, v28, v21
	v_fma_f32 v132, v28, v20, -v26
	v_mul_f32_e32 v26, v25, v23
	v_fmac_f32_e32 v135, v25, v22
	v_fmac_f32_e32 v133, v29, v20
	v_fma_f32 v134, v24, v22, -v26
	v_mul_u32_u24_sdwa v24, v84, v38 dst_sel:DWORD dst_unused:UNUSED_PAD src0_sel:WORD_0 src1_sel:DWORD
	v_lshrrev_b32_e32 v119, 19, v24
	v_mul_lo_u16 v24, v119, 10
	v_sub_nc_u16 v120, v84, v24
	v_lshlrev_b16 v24, 1, v120
	v_lshlrev_b32_sdwa v24, v148, v24 dst_sel:DWORD dst_unused:UNUSED_PAD src0_sel:DWORD src1_sel:WORD_0
	global_load_dwordx4 v[24:27], v24, s[10:11]
	s_waitcnt vmcnt(0) lgkmcnt(4)
	v_mul_f32_e32 v28, v35, v25
	s_waitcnt lgkmcnt(3)
	v_mul_f32_e32 v139, v30, v27
	;; [unrolled: 33-line block ×3, first 2 shown]
	v_mul_f32_e32 v145, v64, v33
	v_fma_f32 v144, v64, v32, -v36
	v_mul_f32_e32 v36, v61, v35
	v_fmac_f32_e32 v145, v65, v32
	v_fmac_f32_e32 v147, v61, v34
	v_fma_f32 v146, v60, v34, -v36
	v_mul_u32_u24_sdwa v36, v83, v38 dst_sel:DWORD dst_unused:UNUSED_PAD src0_sel:WORD_0 src1_sel:DWORD
	v_lshrrev_b32_e32 v127, 19, v36
	v_mul_lo_u16 v36, v127, 10
	v_sub_nc_u16 v128, v83, v36
	v_lshlrev_b16 v36, 1, v128
	v_lshlrev_b32_sdwa v36, v148, v36 dst_sel:DWORD dst_unused:UNUSED_PAD src0_sel:DWORD src1_sel:WORD_0
	global_load_dwordx4 v[36:39], v36, s[10:11]
	s_waitcnt vmcnt(0)
	s_barrier
	buffer_gl0_inv
	v_mul_f32_e32 v60, v67, v37
	v_mul_f32_e32 v150, v66, v37
	;; [unrolled: 1-line block ×3, first 2 shown]
	v_fma_f32 v149, v66, v36, -v60
	v_mul_f32_e32 v60, v63, v39
	v_fmac_f32_e32 v150, v67, v36
	v_fmac_f32_e32 v152, v63, v38
	v_fma_f32 v151, v62, v38, -v60
	v_add_f32_e32 v60, v56, v0
	v_add_f32_e32 v96, v60, v2
	;; [unrolled: 1-line block ×3, first 2 shown]
	v_sub_f32_e32 v0, v0, v2
	v_fma_f32 v92, -0.5, v60, v56
	v_sub_f32_e32 v56, v3, v68
	v_fmamk_f32 v98, v56, 0x3f5db3d7, v92
	v_fmac_f32_e32 v92, 0xbf5db3d7, v56
	v_add_f32_e32 v56, v57, v3
	v_add_f32_e32 v3, v3, v68
	;; [unrolled: 1-line block ×3, first 2 shown]
	v_fma_f32 v93, -0.5, v3, v57
	v_fmamk_f32 v99, v0, 0xbf5db3d7, v93
	v_fmac_f32_e32 v93, 0x3f5db3d7, v0
	v_add_f32_e32 v0, v58, v69
	v_add_f32_e32 v90, v0, v71
	v_add_f32_e32 v0, v69, v71
	v_fma_f32 v58, -0.5, v0, v58
	v_sub_f32_e32 v0, v70, v72
	v_fmamk_f32 v94, v0, 0x3f5db3d7, v58
	v_fmac_f32_e32 v58, 0xbf5db3d7, v0
	v_add_f32_e32 v0, v59, v70
	v_add_f32_e32 v91, v0, v72
	v_add_f32_e32 v0, v70, v72
	v_fmac_f32_e32 v59, -0.5, v0
	v_sub_f32_e32 v0, v69, v71
	v_fmamk_f32 v95, v0, 0xbf5db3d7, v59
	v_fmac_f32_e32 v59, 0x3f5db3d7, v0
	v_add_f32_e32 v0, v52, v73
	v_add_f32_e32 v86, v0, v75
	v_add_f32_e32 v0, v73, v75
	v_fma_f32 v84, -0.5, v0, v52
	v_sub_f32_e32 v0, v74, v76
	v_fmamk_f32 v88, v0, 0x3f5db3d7, v84
	v_fmac_f32_e32 v84, 0xbf5db3d7, v0
	v_add_f32_e32 v0, v53, v74
	v_add_f32_e32 v87, v0, v76
	v_add_f32_e32 v0, v74, v76
	v_fma_f32 v85, -0.5, v0, v53
	v_sub_f32_e32 v0, v73, v75
	v_fmamk_f32 v89, v0, 0xbf5db3d7, v85
	v_fmac_f32_e32 v85, 0x3f5db3d7, v0
	v_add_f32_e32 v0, v54, v77
	v_add_f32_e32 v80, v0, v79
	v_add_f32_e32 v0, v77, v79
	v_fma_f32 v54, -0.5, v0, v54
	v_sub_f32_e32 v0, v78, v110
	v_fmamk_f32 v82, v0, 0x3f5db3d7, v54
	v_fmac_f32_e32 v54, 0xbf5db3d7, v0
	v_add_f32_e32 v0, v55, v78
	v_add_f32_e32 v81, v0, v110
	v_add_f32_e32 v0, v78, v110
	v_fmac_f32_e32 v55, -0.5, v0
	v_sub_f32_e32 v0, v77, v79
	v_fmamk_f32 v83, v0, 0xbf5db3d7, v55
	v_fmac_f32_e32 v55, 0x3f5db3d7, v0
	v_add_f32_e32 v0, v48, v111
	v_add_f32_e32 v76, v0, v130
	v_add_f32_e32 v0, v111, v130
	v_fma_f32 v74, -0.5, v0, v48
	v_sub_f32_e32 v0, v129, v131
	v_fmamk_f32 v78, v0, 0x3f5db3d7, v74
	v_fmac_f32_e32 v74, 0xbf5db3d7, v0
	v_add_f32_e32 v0, v49, v129
	v_add_f32_e32 v77, v0, v131
	v_add_f32_e32 v0, v129, v131
	v_fma_f32 v75, -0.5, v0, v49
	v_sub_f32_e32 v0, v111, v130
	;; [unrolled: 28-line block ×4, first 2 shown]
	v_fmamk_f32 v57, v0, 0xbf5db3d7, v49
	v_fmac_f32_e32 v49, 0x3f5db3d7, v0
	v_add_f32_e32 v0, v42, v149
	v_add_f32_e32 v40, v0, v151
	;; [unrolled: 1-line block ×3, first 2 shown]
	v_fma_f32 v42, -0.5, v0, v42
	v_sub_f32_e32 v0, v150, v152
	v_fmamk_f32 v44, v0, 0x3f5db3d7, v42
	v_fmac_f32_e32 v42, 0xbf5db3d7, v0
	v_add_f32_e32 v0, v43, v150
	v_add_f32_e32 v41, v0, v152
	;; [unrolled: 1-line block ×3, first 2 shown]
	v_fmac_f32_e32 v43, -0.5, v0
	v_sub_f32_e32 v0, v149, v151
	v_fmamk_f32 v45, v0, 0xbf5db3d7, v43
	v_fmac_f32_e32 v43, 0x3f5db3d7, v0
	v_mov_b32_e32 v0, 30
	v_mul_u32_u24_sdwa v2, v102, v0 dst_sel:DWORD dst_unused:UNUSED_PAD src0_sel:WORD_0 src1_sel:DWORD
	v_mul_u32_u24_sdwa v0, v105, v0 dst_sel:DWORD dst_unused:UNUSED_PAD src0_sel:WORD_0 src1_sel:DWORD
	v_add_lshl_u32 v2, v2, v103, 3
	v_add_lshl_u32 v0, v0, v107, 3
	buffer_store_dword v2, off, s[20:23], 0 offset:260 ; 4-byte Folded Spill
	ds_write2_b64 v2, v[96:97], v[98:99] offset1:10
	ds_write_b64 v2, v[92:93] offset:160
	buffer_store_dword v0, off, s[20:23], 0 offset:228 ; 4-byte Folded Spill
	ds_write2_b64 v0, v[90:91], v[94:95] offset1:10
	ds_write_b64 v0, v[58:59] offset:160
	v_mad_u16 v0, v117, 30, v118
	v_lshlrev_b32_sdwa v0, v148, v0 dst_sel:DWORD dst_unused:UNUSED_PAD src0_sel:DWORD src1_sel:WORD_0
	buffer_store_dword v0, off, s[20:23], 0 offset:232 ; 4-byte Folded Spill
	ds_write2_b64 v0, v[86:87], v[88:89] offset1:10
	ds_write_b64 v0, v[84:85] offset:160
	v_mad_u16 v0, v121, 30, v122
	v_lshlrev_b32_sdwa v0, v148, v0 dst_sel:DWORD dst_unused:UNUSED_PAD src0_sel:DWORD src1_sel:WORD_0
	;; [unrolled: 5-line block ×8, first 2 shown]
	buffer_store_dword v0, off, s[20:23], 0 offset:224 ; 4-byte Folded Spill
	ds_write2_b64 v0, v[40:41], v[44:45] offset1:10
	ds_write_b64 v0, v[42:43] offset:160
	v_mul_lo_u16 v0, 0x89, v116
	s_waitcnt lgkmcnt(0)
	s_waitcnt_vscnt null, 0x0
	s_barrier
	buffer_gl0_inv
	ds_read2_b64 v[44:47], v108 offset1:100
	ds_read2_b64 v[40:43], v236 offset0:72 offset1:172
	ds_read2_b64 v[122:125], v238 offset0:88 offset1:188
	ds_read2_b64 v[92:95], v237 offset0:32 offset1:132
	ds_read2_b64 v[143:146], v239 offset0:48 offset1:148
	ds_read2_b64 v[84:87], v160 offset0:120 offset1:220
	v_lshrrev_b16 v153, 12, v0
	ds_read2_b64 v[104:107], v158 offset0:8 offset1:108
	ds_read2_b64 v[76:79], v5 offset0:80 offset1:180
	;; [unrolled: 1-line block ×6, first 2 shown]
	v_mul_lo_u16 v0, v153, 30
	ds_read2_b64 v[80:83], v159 offset0:64 offset1:164
	ds_read2_b64 v[72:75], v245 offset0:152 offset1:252
	;; [unrolled: 1-line block ×3, first 2 shown]
	v_mov_b32_e32 v5, v179
	v_mov_b32_e32 v246, v176
	v_sub_nc_u16 v0, v112, v0
	v_and_b32_e32 v154, 0xff, v0
	v_mad_u64_u32 v[110:111], null, 0x48, v154, s[10:11]
	s_clause 0x4
	global_load_dwordx4 v[48:51], v[110:111], off offset:208
	global_load_dwordx4 v[56:59], v[110:111], off offset:192
	;; [unrolled: 1-line block ×4, first 2 shown]
	global_load_dwordx2 v[228:229], v[110:111], off offset:224
	s_waitcnt vmcnt(3) lgkmcnt(9)
	v_mul_f32_e32 v3, v87, v57
	s_waitcnt vmcnt(2)
	v_mul_f32_e32 v2, v95, v65
	s_waitcnt vmcnt(1)
	v_mul_f32_e32 v0, v43, v69
	v_mul_f32_e32 v141, v143, v67
	s_waitcnt lgkmcnt(8)
	v_mul_f32_e32 v142, v104, v59
	v_fma_f32 v138, v86, v56, -v3
	v_fma_f32 v137, v94, v64, -v2
	;; [unrolled: 1-line block ×3, first 2 shown]
	v_mul_f32_e32 v42, v42, v69
	v_mul_f32_e32 v2, v144, v67
	v_fmac_f32_e32 v141, v144, v66
	v_mul_f32_e32 v3, v105, v59
	v_fmac_f32_e32 v142, v105, v58
	v_fmac_f32_e32 v42, v43, v68
	s_waitcnt lgkmcnt(7)
	v_mul_f32_e32 v43, v79, v49
	v_fma_f32 v2, v143, v66, -v2
	s_waitcnt lgkmcnt(6)
	v_mul_f32_e32 v143, v100, v51
	v_fma_f32 v3, v104, v58, -v3
	v_mul_f32_e32 v0, v123, v71
	v_fma_f32 v139, v78, v48, -v43
	v_mul_f32_e32 v43, v101, v51
	v_mul_f32_e32 v140, v122, v71
	v_mul_f32_e32 v78, v78, v49
	v_fma_f32 v0, v122, v70, -v0
	v_mul_f32_e32 v86, v86, v57
	v_fma_f32 v144, v100, v50, -v43
	s_waitcnt vmcnt(0) lgkmcnt(5)
	v_mul_f32_e32 v43, v63, v229
	v_fmac_f32_e32 v140, v123, v70
	v_fmac_f32_e32 v78, v79, v48
	v_mul_f32_e32 v79, v62, v229
	v_fmac_f32_e32 v86, v87, v56
	v_fma_f32 v100, v62, v228, -v43
	v_mul_lo_u16 v43, 0x89, v115
	v_mul_f32_e32 v94, v94, v65
	v_fmac_f32_e32 v79, v63, v228
	v_fmac_f32_e32 v143, v101, v50
	v_lshrrev_b16 v152, 12, v43
	v_fmac_f32_e32 v94, v95, v64
	v_mul_lo_u16 v43, v152, 30
	v_sub_nc_u16 v43, v114, v43
	v_and_b32_e32 v151, 0xff, v43
	v_mad_u64_u32 v[104:105], null, 0x48, v151, s[10:11]
	s_clause 0x4
	global_load_dwordx4 v[116:119], v[104:105], off offset:208
	global_load_dwordx4 v[120:123], v[104:105], off offset:192
	global_load_dwordx4 v[128:131], v[104:105], off offset:176
	global_load_dwordx4 v[132:135], v[104:105], off offset:160
	global_load_dwordx2 v[110:111], v[104:105], off offset:224
	s_waitcnt vmcnt(4)
	v_mul_f32_e32 v164, v102, v119
	s_waitcnt vmcnt(3)
	v_mul_f32_e32 v160, v106, v123
	;; [unrolled: 2-line block ×3, first 2 shown]
	s_waitcnt vmcnt(0) lgkmcnt(0)
	v_mul_f32_e32 v158, v52, v111
	v_mul_f32_e32 v43, v97, v133
	;; [unrolled: 1-line block ×4, first 2 shown]
	v_fma_f32 v156, v124, v134, -v63
	v_mul_f32_e32 v63, v89, v129
	v_fma_f32 v43, v96, v132, -v43
	v_fmac_f32_e32 v62, v97, v132
	v_fmac_f32_e32 v95, v125, v134
	;; [unrolled: 1-line block ×3, first 2 shown]
	v_fma_f32 v87, v88, v128, -v63
	v_mul_f32_e32 v63, v88, v129
	v_mul_f32_e32 v88, v146, v131
	v_fmac_f32_e32 v158, v53, v110
	v_fmac_f32_e32 v164, v103, v118
	;; [unrolled: 1-line block ×3, first 2 shown]
	v_fma_f32 v157, v145, v130, -v88
	v_mul_f32_e32 v88, v81, v121
	v_mul_f32_e32 v89, v145, v131
	v_fma_f32 v88, v80, v120, -v88
	v_mul_f32_e32 v80, v80, v121
	v_fmac_f32_e32 v89, v146, v130
	v_fmac_f32_e32 v80, v81, v120
	v_mul_f32_e32 v81, v107, v123
	v_fma_f32 v163, v106, v122, -v81
	v_mul_f32_e32 v81, v73, v117
	v_fma_f32 v81, v72, v116, -v81
	v_mul_f32_e32 v72, v72, v117
	v_fmac_f32_e32 v72, v73, v116
	v_mul_f32_e32 v73, v103, v119
	v_fma_f32 v167, v102, v118, -v73
	v_mul_f32_e32 v73, v53, v111
	v_fma_f32 v161, v52, v110, -v73
	v_mov_b32_e32 v52, 0x8889
	v_mul_u32_u24_sdwa v52, v113, v52 dst_sel:DWORD dst_unused:UNUSED_PAD src0_sel:WORD_0 src1_sel:DWORD
	v_lshrrev_b32_e32 v149, 20, v52
	v_mul_lo_u16 v52, v149, 30
	v_sub_nc_u16 v150, v113, v52
	v_mul_lo_u16 v52, 0x48, v150
	v_and_b32_e32 v52, 0xffff, v52
	v_add_co_u32 v96, s2, s10, v52
	v_add_co_ci_u32_e64 v97, null, s11, 0, s2
	s_clause 0x4
	global_load_dwordx4 v[104:107], v[96:97], off offset:208
	global_load_dwordx4 v[248:251], v[96:97], off offset:192
	;; [unrolled: 1-line block ×4, first 2 shown]
	global_load_dwordx2 v[232:233], v[96:97], off offset:224
	v_sub_f32_e32 v96, v139, v100
	s_waitcnt vmcnt(0)
	s_barrier
	buffer_gl0_inv
	s_mov_b32 s2, 0xc3ece2a5
	s_mov_b32 s3, 0x3f35d867
	v_mul_f32_e32 v162, v82, v249
	v_mul_f32_e32 v168, v84, v115
	;; [unrolled: 1-line block ×5, first 2 shown]
	v_fmac_f32_e32 v162, v83, v248
	v_fmac_f32_e32 v168, v85, v114
	v_fma_f32 v53, v98, v124, -v52
	v_mul_f32_e32 v52, v93, v127
	v_fmac_f32_e32 v171, v77, v250
	v_fmac_f32_e32 v159, v93, v126
	v_sub_f32_e32 v93, v100, v139
	v_mul_f32_e32 v155, v98, v125
	v_fma_f32 v165, v92, v126, -v52
	v_mul_f32_e32 v52, v91, v113
	v_sub_f32_e32 v92, v137, v138
	v_sub_f32_e32 v98, v94, v86
	v_fmac_f32_e32 v155, v99, v124
	v_sub_f32_e32 v99, v79, v78
	v_fma_f32 v73, v90, v112, -v52
	v_mul_f32_e32 v52, v90, v113
	v_mul_f32_e32 v90, v85, v115
	v_sub_f32_e32 v85, v3, v144
	v_add_f32_e32 v92, v92, v93
	v_sub_f32_e32 v93, v138, v137
	v_fmac_f32_e32 v52, v91, v112
	v_fma_f32 v169, v84, v114, -v90
	v_mul_f32_e32 v84, v83, v249
	v_sub_f32_e32 v83, v141, v142
	v_sub_f32_e32 v90, v142, v143
	;; [unrolled: 1-line block ×3, first 2 shown]
	v_add_f32_e32 v93, v93, v96
	v_fma_f32 v166, v82, v248, -v84
	v_mul_f32_e32 v82, v77, v251
	v_sub_f32_e32 v77, v0, v2
	v_sub_f32_e32 v84, v144, v3
	;; [unrolled: 1-line block ×3, first 2 shown]
	v_add_f32_e32 v98, v98, v99
	v_fma_f32 v172, v76, v250, -v82
	v_mul_f32_e32 v76, v75, v105
	v_sub_f32_e32 v82, v140, v143
	v_add_f32_e32 v77, v77, v84
	v_sub_f32_e32 v84, v2, v0
	v_fma_f32 v170, v74, v104, -v76
	v_mul_f32_e32 v74, v74, v105
	v_add_f32_e32 v84, v84, v85
	v_sub_f32_e32 v85, v143, v142
	v_fmac_f32_e32 v74, v75, v104
	v_mul_f32_e32 v75, v61, v107
	v_fma_f32 v173, v60, v106, -v75
	v_mul_f32_e32 v75, v60, v107
	v_mul_f32_e32 v60, v55, v233
	v_fmac_f32_e32 v75, v61, v106
	v_fma_f32 v60, v54, v232, -v60
	v_mul_f32_e32 v54, v54, v233
	v_fmac_f32_e32 v54, v55, v232
	v_add_f32_e32 v55, v44, v0
	v_add_f32_e32 v55, v55, v2
	;; [unrolled: 1-line block ×5, first 2 shown]
	v_sub_f32_e32 v2, v2, v3
	v_sub_f32_e32 v3, v140, v141
	v_fma_f32 v55, -0.5, v55, v44
	v_add_f32_e32 v3, v3, v85
	v_sub_f32_e32 v85, v141, v140
	v_fmamk_f32 v76, v82, 0x3f737871, v55
	v_fmac_f32_e32 v55, 0xbf737871, v82
	v_add_f32_e32 v85, v85, v90
	v_fmac_f32_e32 v76, 0x3f167918, v83
	v_fmac_f32_e32 v55, 0xbf167918, v83
	;; [unrolled: 1-line block ×4, first 2 shown]
	v_add_f32_e32 v77, v0, v144
	v_sub_f32_e32 v0, v0, v144
	v_fma_f32 v44, -0.5, v77, v44
	v_fmamk_f32 v77, v83, 0xbf737871, v44
	v_fmac_f32_e32 v44, 0x3f737871, v83
	v_fmac_f32_e32 v77, 0x3f167918, v82
	;; [unrolled: 1-line block ×3, first 2 shown]
	v_add_f32_e32 v82, v45, v140
	v_fmac_f32_e32 v77, 0x3e9e377a, v84
	v_fmac_f32_e32 v44, 0x3e9e377a, v84
	v_add_f32_e32 v82, v82, v141
	v_add_f32_e32 v82, v82, v142
	;; [unrolled: 1-line block ×4, first 2 shown]
	v_fma_f32 v82, -0.5, v82, v45
	v_fmamk_f32 v84, v0, 0xbf737871, v82
	v_fmac_f32_e32 v82, 0x3f737871, v0
	v_fmac_f32_e32 v84, 0xbf167918, v2
	;; [unrolled: 1-line block ×5, first 2 shown]
	v_add_f32_e32 v3, v140, v143
	v_fma_f32 v3, -0.5, v3, v45
	v_fmamk_f32 v45, v2, 0x3f737871, v3
	v_fmac_f32_e32 v3, 0xbf737871, v2
	v_add_f32_e32 v2, v138, v139
	v_fmac_f32_e32 v45, 0xbf167918, v0
	v_fmac_f32_e32 v3, 0x3f167918, v0
	v_fma_f32 v2, -0.5, v2, v136
	v_add_f32_e32 v0, v136, v137
	v_fmac_f32_e32 v45, 0x3e9e377a, v85
	v_fmac_f32_e32 v3, 0x3e9e377a, v85
	v_sub_f32_e32 v85, v94, v79
	v_add_f32_e32 v0, v0, v138
	v_fmamk_f32 v90, v85, 0x3f737871, v2
	v_fmac_f32_e32 v2, 0xbf737871, v85
	v_add_f32_e32 v0, v0, v139
	v_fmac_f32_e32 v90, 0x3f167918, v91
	v_fmac_f32_e32 v2, 0xbf167918, v91
	v_add_f32_e32 v0, v0, v100
	v_fmac_f32_e32 v90, 0x3e9e377a, v92
	v_fmac_f32_e32 v2, 0x3e9e377a, v92
	v_add_f32_e32 v92, v137, v100
	v_add_f32_e32 v144, v61, v0
	v_sub_f32_e32 v138, v61, v0
	v_add_f32_e32 v0, v46, v156
	v_sub_f32_e32 v61, v163, v167
	v_fmac_f32_e32 v136, -0.5, v92
	v_add_f32_e32 v0, v0, v157
	v_fmamk_f32 v92, v91, 0xbf737871, v136
	v_fmac_f32_e32 v136, 0x3f737871, v91
	v_add_f32_e32 v91, v86, v78
	v_add_f32_e32 v0, v0, v163
	v_fmac_f32_e32 v92, 0x3f167918, v85
	v_fmac_f32_e32 v136, 0xbf167918, v85
	v_fma_f32 v91, -0.5, v91, v42
	v_add_f32_e32 v85, v42, v94
	v_add_f32_e32 v0, v0, v167
	v_fmac_f32_e32 v92, 0x3e9e377a, v93
	v_fmac_f32_e32 v136, 0x3e9e377a, v93
	v_sub_f32_e32 v93, v137, v100
	v_add_f32_e32 v85, v85, v86
	v_sub_f32_e32 v86, v86, v94
	v_fmamk_f32 v97, v93, 0xbf737871, v91
	v_fmac_f32_e32 v91, 0x3f737871, v93
	v_add_f32_e32 v85, v85, v78
	v_sub_f32_e32 v78, v78, v79
	v_fmac_f32_e32 v97, 0xbf167918, v96
	v_fmac_f32_e32 v91, 0x3f167918, v96
	v_add_f32_e32 v85, v85, v79
	v_add_f32_e32 v78, v86, v78
	v_mul_f32_e32 v86, 0xbe9e377a, v136
	v_fmac_f32_e32 v97, 0x3e9e377a, v98
	v_fmac_f32_e32 v91, 0x3e9e377a, v98
	v_add_f32_e32 v98, v94, v79
	v_add_f32_e32 v145, v83, v85
	v_sub_f32_e32 v139, v83, v85
	v_sub_f32_e32 v83, v87, v88
	;; [unrolled: 1-line block ×3, first 2 shown]
	v_fmac_f32_e32 v42, -0.5, v98
	v_fmamk_f32 v98, v96, 0x3f737871, v42
	v_fmac_f32_e32 v42, 0xbf737871, v96
	v_fmac_f32_e32 v98, 0xbf167918, v93
	;; [unrolled: 1-line block ×3, first 2 shown]
	v_mul_f32_e32 v93, 0xbf4f1bbd, v2
	v_fmac_f32_e32 v98, 0x3e9e377a, v78
	v_fmac_f32_e32 v42, 0x3e9e377a, v78
	;; [unrolled: 1-line block ×3, first 2 shown]
	v_mul_f32_e32 v91, 0xbf4f1bbd, v91
	v_mul_f32_e32 v78, 0x3f167918, v97
	;; [unrolled: 1-line block ×3, first 2 shown]
	v_fmac_f32_e32 v86, 0x3f737871, v42
	v_mul_f32_e32 v42, 0xbe9e377a, v42
	v_fmac_f32_e32 v91, 0xbf167918, v2
	v_add_f32_e32 v2, v157, v163
	v_fmac_f32_e32 v79, 0x3e9e377a, v92
	v_mul_f32_e32 v92, 0xbf737871, v92
	v_fmac_f32_e32 v42, 0xbf737871, v136
	v_add_f32_e32 v142, v44, v86
	v_fma_f32 v2, -0.5, v2, v46
	v_add_f32_e32 v96, v55, v93
	v_fmac_f32_e32 v92, 0x3e9e377a, v98
	v_add_f32_e32 v143, v3, v42
	v_sub_f32_e32 v99, v3, v42
	v_sub_f32_e32 v3, v95, v164
	;; [unrolled: 1-line block ×3, first 2 shown]
	v_add_f32_e32 v141, v45, v92
	v_sub_f32_e32 v100, v55, v93
	v_sub_f32_e32 v137, v45, v92
	v_fmamk_f32 v42, v3, 0x3f737871, v2
	v_sub_f32_e32 v44, v89, v160
	v_sub_f32_e32 v45, v156, v157
	;; [unrolled: 1-line block ×3, first 2 shown]
	v_fmac_f32_e32 v2, 0xbf737871, v3
	v_fmac_f32_e32 v78, 0x3f4f1bbd, v90
	v_fmac_f32_e32 v42, 0x3f167918, v44
	v_add_f32_e32 v140, v77, v79
	v_add_f32_e32 v45, v45, v55
	v_fmac_f32_e32 v2, 0xbf167918, v44
	v_sub_f32_e32 v55, v157, v156
	v_add_f32_e32 v146, v76, v78
	v_sub_f32_e32 v102, v76, v78
	v_fmac_f32_e32 v42, 0x3e9e377a, v45
	v_fmac_f32_e32 v2, 0x3e9e377a, v45
	v_add_f32_e32 v45, v156, v167
	v_add_f32_e32 v55, v55, v61
	v_sub_f32_e32 v136, v77, v79
	v_sub_f32_e32 v76, v157, v163
	;; [unrolled: 1-line block ×3, first 2 shown]
	v_fma_f32 v45, -0.5, v45, v46
	v_sub_f32_e32 v78, v164, v160
	v_sub_f32_e32 v79, v160, v164
	v_mul_f32_e32 v90, 0xbf167918, v90
	v_sub_f32_e32 v101, v82, v91
	v_fmamk_f32 v46, v44, 0xbf737871, v45
	v_fmac_f32_e32 v45, 0x3f737871, v44
	v_add_f32_e32 v44, v89, v160
	v_add_f32_e32 v77, v77, v78
	v_sub_f32_e32 v78, v89, v95
	v_fmac_f32_e32 v46, 0x3f167918, v3
	v_fmac_f32_e32 v45, 0xbf167918, v3
	v_fma_f32 v44, -0.5, v44, v47
	v_add_f32_e32 v3, v47, v95
	v_add_f32_e32 v78, v78, v79
	v_fmac_f32_e32 v46, 0x3e9e377a, v55
	v_fmac_f32_e32 v45, 0x3e9e377a, v55
	v_sub_f32_e32 v55, v156, v167
	v_fmac_f32_e32 v90, 0x3f4f1bbd, v97
	v_add_f32_e32 v97, v82, v91
	v_sub_f32_e32 v82, v80, v72
	v_sub_f32_e32 v86, v158, v72
	v_fmamk_f32 v61, v55, 0xbf737871, v44
	v_fmac_f32_e32 v44, 0x3f737871, v55
	v_add_f32_e32 v147, v84, v90
	v_sub_f32_e32 v103, v84, v90
	v_sub_f32_e32 v84, v161, v81
	v_fmac_f32_e32 v61, 0xbf167918, v76
	v_fmac_f32_e32 v44, 0x3f167918, v76
	v_add_f32_e32 v3, v3, v89
	v_add_f32_e32 v83, v83, v84
	v_fmac_f32_e32 v61, 0x3e9e377a, v77
	v_fmac_f32_e32 v44, 0x3e9e377a, v77
	v_add_f32_e32 v77, v95, v164
	v_sub_f32_e32 v84, v88, v87
	v_add_f32_e32 v3, v3, v160
	v_fmac_f32_e32 v47, -0.5, v77
	v_add_f32_e32 v84, v84, v85
	v_add_f32_e32 v3, v3, v164
	v_fmamk_f32 v77, v76, 0x3f737871, v47
	v_fmac_f32_e32 v47, 0xbf737871, v76
	v_add_f32_e32 v76, v88, v81
	v_fmac_f32_e32 v77, 0xbf167918, v55
	v_fmac_f32_e32 v47, 0x3f167918, v55
	v_fma_f32 v76, -0.5, v76, v43
	v_add_f32_e32 v55, v43, v87
	v_fmac_f32_e32 v77, 0x3e9e377a, v78
	v_fmac_f32_e32 v47, 0x3e9e377a, v78
	v_sub_f32_e32 v78, v63, v158
	v_add_f32_e32 v55, v55, v88
	v_fmamk_f32 v79, v78, 0x3f737871, v76
	v_fmac_f32_e32 v76, 0xbf737871, v78
	v_add_f32_e32 v55, v55, v81
	v_sub_f32_e32 v81, v88, v81
	v_fmac_f32_e32 v79, 0x3f167918, v82
	v_fmac_f32_e32 v76, 0xbf167918, v82
	v_add_f32_e32 v55, v55, v161
	v_fmac_f32_e32 v79, 0x3e9e377a, v83
	v_fmac_f32_e32 v76, 0x3e9e377a, v83
	v_add_f32_e32 v83, v87, v161
	v_add_f32_e32 v92, v0, v55
	v_fmac_f32_e32 v43, -0.5, v83
	v_fmamk_f32 v83, v82, 0xbf737871, v43
	v_fmac_f32_e32 v43, 0x3f737871, v82
	v_sub_f32_e32 v82, v87, v161
	v_mul_f32_e32 v87, 0xbf4f1bbd, v76
	v_fmac_f32_e32 v83, 0x3f167918, v78
	v_fmac_f32_e32 v43, 0xbf167918, v78
	v_add_f32_e32 v78, v62, v63
	v_fmac_f32_e32 v83, 0x3e9e377a, v84
	v_fmac_f32_e32 v43, 0x3e9e377a, v84
	v_add_f32_e32 v78, v78, v80
	v_sub_f32_e32 v84, v63, v80
	v_add_f32_e32 v78, v78, v72
	v_add_f32_e32 v84, v84, v86
	;; [unrolled: 1-line block ×4, first 2 shown]
	v_sub_f32_e32 v72, v72, v158
	v_add_f32_e32 v93, v3, v156
	v_fma_f32 v78, -0.5, v78, v62
	v_fmamk_f32 v85, v82, 0xbf737871, v78
	v_fmac_f32_e32 v78, 0x3f737871, v82
	v_fmac_f32_e32 v85, 0xbf167918, v81
	;; [unrolled: 1-line block ×5, first 2 shown]
	v_add_f32_e32 v84, v63, v158
	v_sub_f32_e32 v63, v80, v63
	v_fmac_f32_e32 v87, 0x3f167918, v78
	v_fmac_f32_e32 v62, -0.5, v84
	v_add_f32_e32 v63, v63, v72
	v_add_f32_e32 v84, v2, v87
	v_fmamk_f32 v86, v81, 0x3f737871, v62
	v_fmac_f32_e32 v62, 0xbf737871, v81
	v_mul_f32_e32 v81, 0xbe9e377a, v43
	v_fmac_f32_e32 v86, 0xbf167918, v82
	v_fmac_f32_e32 v62, 0x3f167918, v82
	;; [unrolled: 1-line block ×4, first 2 shown]
	v_mul_f32_e32 v63, 0x3f167918, v85
	v_mul_f32_e32 v72, 0x3f737871, v86
	v_fmac_f32_e32 v81, 0x3f737871, v62
	v_mul_f32_e32 v62, 0xbe9e377a, v62
	v_fmac_f32_e32 v63, 0x3f4f1bbd, v79
	;; [unrolled: 2-line block ×3, first 2 shown]
	v_add_f32_e32 v90, v45, v81
	v_fmac_f32_e32 v62, 0xbf737871, v43
	v_mul_f32_e32 v43, 0xbf4f1bbd, v78
	v_sub_f32_e32 v78, v2, v87
	v_add_f32_e32 v2, v169, v172
	v_fmac_f32_e32 v79, 0x3f4f1bbd, v85
	v_sub_f32_e32 v87, v3, v156
	v_fmac_f32_e32 v43, 0xbf167918, v76
	v_sub_f32_e32 v3, v159, v75
	v_fma_f32 v2, -0.5, v2, v40
	v_add_f32_e32 v94, v42, v63
	v_add_f32_e32 v95, v61, v79
	;; [unrolled: 1-line block ×3, first 2 shown]
	v_sub_f32_e32 v80, v42, v63
	v_sub_f32_e32 v76, v45, v81
	;; [unrolled: 1-line block ×4, first 2 shown]
	v_fmamk_f32 v42, v3, 0x3f737871, v2
	v_sub_f32_e32 v43, v168, v171
	v_sub_f32_e32 v44, v165, v169
	;; [unrolled: 1-line block ×3, first 2 shown]
	v_fmac_f32_e32 v2, 0xbf737871, v3
	v_mul_f32_e32 v83, 0xbf737871, v83
	v_fmac_f32_e32 v42, 0x3f167918, v43
	v_add_f32_e32 v88, v46, v72
	v_add_f32_e32 v44, v44, v45
	v_fmac_f32_e32 v2, 0xbf167918, v43
	v_fmac_f32_e32 v83, 0x3e9e377a, v86
	v_sub_f32_e32 v86, v0, v55
	v_add_f32_e32 v0, v40, v165
	v_fmac_f32_e32 v42, 0x3e9e377a, v44
	v_fmac_f32_e32 v2, 0x3e9e377a, v44
	v_add_f32_e32 v44, v165, v173
	v_sub_f32_e32 v82, v46, v72
	v_sub_f32_e32 v46, v172, v173
	v_add_f32_e32 v89, v77, v83
	v_add_f32_e32 v91, v47, v62
	v_fma_f32 v40, -0.5, v44, v40
	v_sub_f32_e32 v44, v169, v165
	v_sub_f32_e32 v83, v77, v83
	;; [unrolled: 1-line block ×4, first 2 shown]
	v_fmamk_f32 v45, v43, 0xbf737871, v40
	v_fmac_f32_e32 v40, 0x3f737871, v43
	v_add_f32_e32 v44, v44, v46
	v_add_f32_e32 v43, v168, v171
	v_sub_f32_e32 v46, v169, v172
	v_fmac_f32_e32 v45, 0x3f167918, v3
	v_fmac_f32_e32 v40, 0xbf167918, v3
	v_sub_f32_e32 v61, v75, v171
	v_fma_f32 v43, -0.5, v43, v41
	v_add_f32_e32 v3, v41, v159
	v_fmac_f32_e32 v45, 0x3e9e377a, v44
	v_fmac_f32_e32 v40, 0x3e9e377a, v44
	v_sub_f32_e32 v44, v165, v173
	v_add_f32_e32 v55, v55, v61
	v_sub_f32_e32 v61, v171, v75
	v_sub_f32_e32 v62, v162, v74
	;; [unrolled: 1-line block ×3, first 2 shown]
	v_fmamk_f32 v47, v44, 0xbf737871, v43
	v_fmac_f32_e32 v43, 0x3f737871, v44
	v_sub_f32_e32 v72, v60, v170
	v_add_f32_e32 v3, v3, v168
	v_add_f32_e32 v0, v0, v169
	v_fmac_f32_e32 v47, 0xbf167918, v46
	v_fmac_f32_e32 v43, 0x3f167918, v46
	v_add_f32_e32 v63, v63, v72
	v_add_f32_e32 v3, v3, v171
	v_sub_f32_e32 v72, v166, v73
	v_fmac_f32_e32 v47, 0x3e9e377a, v55
	v_fmac_f32_e32 v43, 0x3e9e377a, v55
	v_add_f32_e32 v55, v159, v75
	v_add_f32_e32 v3, v3, v75
	v_sub_f32_e32 v75, v170, v60
	v_add_f32_e32 v0, v0, v172
	v_fmac_f32_e32 v41, -0.5, v55
	v_sub_f32_e32 v55, v168, v159
	v_add_f32_e32 v72, v72, v75
	v_add_f32_e32 v0, v0, v173
	v_fmamk_f32 v156, v46, 0x3f737871, v41
	v_fmac_f32_e32 v41, 0xbf737871, v46
	v_add_f32_e32 v55, v55, v61
	v_add_f32_e32 v46, v166, v170
	v_fmac_f32_e32 v156, 0xbf167918, v44
	v_fmac_f32_e32 v41, 0x3f167918, v44
	v_add_f32_e32 v44, v53, v73
	v_fma_f32 v46, -0.5, v46, v53
	v_fmac_f32_e32 v156, 0x3e9e377a, v55
	v_fmac_f32_e32 v41, 0x3e9e377a, v55
	v_sub_f32_e32 v55, v52, v54
	v_add_f32_e32 v44, v44, v166
	v_fmamk_f32 v61, v55, 0x3f737871, v46
	v_fmac_f32_e32 v46, 0xbf737871, v55
	v_add_f32_e32 v44, v44, v170
	v_fmac_f32_e32 v61, 0x3f167918, v62
	v_fmac_f32_e32 v46, 0xbf167918, v62
	v_add_f32_e32 v44, v44, v60
	v_fmac_f32_e32 v61, 0x3e9e377a, v63
	v_fmac_f32_e32 v46, 0x3e9e377a, v63
	v_add_f32_e32 v63, v73, v60
	v_sub_f32_e32 v60, v73, v60
	v_sub_f32_e32 v73, v54, v74
	v_mul_f32_e32 v163, 0xbf167918, v61
	v_fmac_f32_e32 v53, -0.5, v63
	v_fmamk_f32 v63, v62, 0xbf737871, v53
	v_fmac_f32_e32 v53, 0x3f737871, v62
	v_add_f32_e32 v62, v162, v74
	v_fmac_f32_e32 v63, 0x3f167918, v55
	v_fmac_f32_e32 v53, 0xbf167918, v55
	v_fma_f32 v157, -0.5, v62, v155
	v_sub_f32_e32 v62, v166, v170
	v_add_f32_e32 v55, v155, v52
	v_fmac_f32_e32 v63, 0x3e9e377a, v72
	v_fmac_f32_e32 v53, 0x3e9e377a, v72
	v_fmamk_f32 v75, v60, 0xbf737871, v157
	v_sub_f32_e32 v72, v52, v162
	v_fmac_f32_e32 v157, 0x3f737871, v60
	v_add_f32_e32 v55, v55, v162
	v_mul_f32_e32 v161, 0xbe9e377a, v53
	v_fmac_f32_e32 v75, 0xbf167918, v62
	v_add_f32_e32 v72, v72, v73
	v_fmac_f32_e32 v157, 0x3f167918, v62
	v_add_f32_e32 v55, v55, v74
	v_mul_f32_e32 v164, 0xbf737871, v63
	v_fmac_f32_e32 v75, 0x3e9e377a, v72
	v_fmac_f32_e32 v157, 0x3e9e377a, v72
	v_add_f32_e32 v72, v52, v54
	v_add_f32_e32 v55, v55, v54
	v_sub_f32_e32 v52, v162, v52
	v_sub_f32_e32 v54, v74, v54
	v_mul_f32_e32 v159, 0x3f167918, v75
	v_fmac_f32_e32 v155, -0.5, v72
	v_mul_f32_e32 v162, 0xbf4f1bbd, v46
	v_add_f32_e32 v72, v0, v44
	v_add_f32_e32 v52, v52, v54
	v_fmac_f32_e32 v159, 0x3f4f1bbd, v61
	v_fmamk_f32 v158, v62, 0x3f737871, v155
	v_fmac_f32_e32 v155, 0xbf737871, v62
	v_fmac_f32_e32 v162, 0x3f167918, v157
	v_sub_f32_e32 v54, v0, v44
	v_mov_b32_e32 v0, 0x12c
	v_fmac_f32_e32 v158, 0xbf167918, v60
	v_fmac_f32_e32 v155, 0x3f167918, v60
	v_add_f32_e32 v74, v42, v159
	v_sub_f32_e32 v44, v42, v159
	v_sub_f32_e32 v42, v2, v162
	v_fmac_f32_e32 v158, 0x3e9e377a, v52
	v_fmac_f32_e32 v155, 0x3e9e377a, v52
	v_add_f32_e32 v52, v2, v162
	v_mul_u32_u24_sdwa v2, v153, v0 dst_sel:DWORD dst_unused:UNUSED_PAD src0_sel:WORD_0 src1_sel:DWORD
	v_mul_u32_u24_sdwa v0, v152, v0 dst_sel:DWORD dst_unused:UNUSED_PAD src0_sel:WORD_0 src1_sel:DWORD
	v_mul_f32_e32 v157, 0xbf4f1bbd, v157
	v_fmac_f32_e32 v161, 0x3f737871, v155
	v_mul_f32_e32 v155, 0xbe9e377a, v155
	v_add_lshl_u32 v1, v2, v154, 3
	v_add_lshl_u32 v252, v0, v151, 3
	v_mul_f32_e32 v160, 0x3f737871, v158
	v_fmac_f32_e32 v163, 0x3f4f1bbd, v75
	v_fmac_f32_e32 v155, 0xbf737871, v53
	v_add_nc_u32_e32 v2, 0x400, v1
	v_add_nc_u32_e32 v0, 0x400, v252
	ds_write2_b64 v1, v[144:145], v[146:147] offset1:30
	buffer_store_dword v1, off, s[20:23], 0 offset:264 ; 4-byte Folded Spill
	ds_write2_b64 v1, v[140:141], v[142:143] offset0:60 offset1:90
	ds_write2_b64 v1, v[96:97], v[138:139] offset0:120 offset1:150
	;; [unrolled: 1-line block ×3, first 2 shown]
	buffer_store_dword v2, off, s[20:23], 0 offset:204 ; 4-byte Folded Spill
	ds_write2_b64 v2, v[98:99], v[100:101] offset0:112 offset1:142
	ds_write2_b64 v252, v[92:93], v[94:95] offset1:30
	ds_write2_b64 v252, v[88:89], v[90:91] offset0:60 offset1:90
	ds_write2_b64 v252, v[84:85], v[86:87] offset0:120 offset1:150
	;; [unrolled: 1-line block ×3, first 2 shown]
	v_mad_u64_u32 v[82:83], null, 0x48, v182, s[10:11]
	buffer_store_dword v0, off, s[20:23], 0 offset:208 ; 4-byte Folded Spill
	ds_write2_b64 v0, v[76:77], v[78:79] offset0:112 offset1:142
	v_mad_u16 v0, 0x12c, v149, v150
	v_fmac_f32_e32 v157, 0xbf167918, v46
	v_fmac_f32_e32 v160, 0x3e9e377a, v63
	;; [unrolled: 1-line block ×3, first 2 shown]
	v_add_co_u32 v2, vcc_lo, 0x910, v82
	v_lshlrev_b32_sdwa v255, v148, v0 dst_sel:DWORD dst_unused:UNUSED_PAD src0_sel:DWORD src1_sel:WORD_0
	v_add_f32_e32 v73, v3, v55
	v_sub_f32_e32 v55, v3, v55
	v_add_co_ci_u32_e32 v3, vcc_lo, 0, v83, vcc_lo
	v_add_co_u32 v76, vcc_lo, 0x800, v82
	v_add_f32_e32 v62, v40, v161
	v_add_f32_e32 v75, v47, v163
	;; [unrolled: 1-line block ×4, first 2 shown]
	v_sub_f32_e32 v40, v40, v161
	v_sub_f32_e32 v41, v41, v155
	;; [unrolled: 1-line block ×3, first 2 shown]
	v_add_nc_u32_e32 v0, 0x400, v255
	v_add_co_ci_u32_e32 v77, vcc_lo, 0, v83, vcc_lo
	v_add_f32_e32 v60, v45, v160
	v_add_f32_e32 v61, v156, v164
	v_sub_f32_e32 v46, v45, v160
	v_sub_f32_e32 v45, v47, v163
	;; [unrolled: 1-line block ×3, first 2 shown]
	ds_write2_b64 v255, v[72:73], v[74:75] offset1:30
	ds_write2_b64 v255, v[60:61], v[62:63] offset0:60 offset1:90
	ds_write2_b64 v255, v[52:53], v[54:55] offset0:120 offset1:150
	;; [unrolled: 1-line block ×3, first 2 shown]
	buffer_store_dword v0, off, s[20:23], 0 offset:220 ; 4-byte Folded Spill
	ds_write2_b64 v0, v[40:41], v[42:43] offset0:112 offset1:142
	s_waitcnt lgkmcnt(0)
	s_waitcnt_vscnt null, 0x0
	s_barrier
	buffer_gl0_inv
	ds_read2_b64 v[140:143], v108 offset1:100
	ds_read2_b64 v[136:139], v236 offset0:72 offset1:172
	ds_read2_b64 v[72:75], v238 offset0:88 offset1:188
	;; [unrolled: 1-line block ×14, first 2 shown]
	s_clause 0x4
	global_load_dwordx4 v[60:63], v[76:77], off offset:272
	global_load_dwordx4 v[40:43], v[2:3], off offset:48
	;; [unrolled: 1-line block ×4, first 2 shown]
	global_load_dwordx2 v[226:227], v[76:77], off offset:336
	v_mov_b32_e32 v1, v185
	v_mov_b32_e32 v7, v183
	s_waitcnt vmcnt(4) lgkmcnt(13)
	v_mul_f32_e32 v0, v139, v61
	s_waitcnt lgkmcnt(12)
	v_mul_f32_e32 v211, v72, v63
	s_waitcnt vmcnt(2) lgkmcnt(8)
	v_mul_f32_e32 v214, v86, v47
	s_waitcnt vmcnt(1)
	v_mul_f32_e32 v212, v78, v55
	v_mul_f32_e32 v183, v138, v61
	v_fma_f32 v182, v138, v60, -v0
	v_mul_f32_e32 v0, v73, v63
	v_fmac_f32_e32 v211, v73, v62
	v_fmac_f32_e32 v212, v79, v54
	;; [unrolled: 1-line block ×3, first 2 shown]
	s_waitcnt vmcnt(0) lgkmcnt(5)
	v_mul_f32_e32 v187, v150, v227
	v_fma_f32 v213, v72, v62, -v0
	v_mul_f32_e32 v0, v175, v53
	v_mul_f32_e32 v72, v151, v227
	;; [unrolled: 1-line block ×3, first 2 shown]
	v_fmac_f32_e32 v187, v151, v226
	v_fmac_f32_e32 v183, v139, v60
	v_fma_f32 v185, v174, v52, -v0
	v_mul_f32_e32 v0, v79, v55
	v_fma_f32 v210, v150, v226, -v72
	v_add_co_u32 v72, vcc_lo, 0x2530, v82
	v_add_co_ci_u32_e32 v73, vcc_lo, 0, v83, vcc_lo
	v_fma_f32 v215, v78, v54, -v0
	v_mul_f32_e32 v0, v167, v45
	v_add_co_u32 v90, vcc_lo, 0x2000, v82
	v_add_co_ci_u32_e32 v91, vcc_lo, 0, v83, vcc_lo
	v_fma_f32 v186, v166, v44, -v0
	v_mul_f32_e32 v0, v87, v47
	v_mul_f32_e32 v166, v166, v45
	v_fmac_f32_e32 v184, v175, v52
	v_fma_f32 v2, v86, v46, -v0
	v_mul_f32_e32 v0, v159, v41
	v_fmac_f32_e32 v166, v167, v44
	v_mul_f32_e32 v167, v158, v41
	v_fma_f32 v195, v158, v40, -v0
	v_mul_f32_e32 v0, v95, v43
	v_fmac_f32_e32 v167, v159, v40
	v_fma_f32 v3, v94, v42, -v0
	v_mul_f32_e32 v0, v94, v43
	v_fmac_f32_e32 v0, v95, v42
	s_clause 0x4
	global_load_dwordx4 v[100:103], v[90:91], off offset:1328
	global_load_dwordx4 v[76:79], v[72:73], off offset:48
	;; [unrolled: 1-line block ×4, first 2 shown]
	global_load_dwordx2 v[230:231], v[90:91], off offset:1392
	s_waitcnt vmcnt(4) lgkmcnt(4)
	v_mul_f32_e32 v72, v177, v101
	v_mul_f32_e32 v175, v74, v103
	s_waitcnt vmcnt(2)
	v_mul_f32_e32 v190, v88, v87
	s_waitcnt lgkmcnt(2)
	v_mul_f32_e32 v151, v160, v85
	s_waitcnt vmcnt(1)
	v_mul_f32_e32 v188, v80, v95
	v_fma_f32 v138, v176, v100, -v72
	v_mul_f32_e32 v72, v75, v103
	v_fmac_f32_e32 v190, v89, v86
	v_fmac_f32_e32 v151, v161, v84
	v_fmac_f32_e32 v175, v75, v102
	v_fmac_f32_e32 v188, v81, v94
	v_fma_f32 v189, v74, v102, -v72
	v_mul_f32_e32 v72, v169, v93
	v_mul_f32_e32 v150, v168, v93
	;; [unrolled: 1-line block ×3, first 2 shown]
	v_fma_f32 v158, v168, v92, -v72
	v_mul_f32_e32 v72, v81, v95
	v_fmac_f32_e32 v150, v169, v92
	v_sub_f32_e32 v168, v185, v186
	v_fmac_f32_e32 v139, v177, v100
	v_fma_f32 v191, v80, v94, -v72
	v_mul_f32_e32 v72, v161, v85
	v_fma_f32 v159, v160, v84, -v72
	v_mul_f32_e32 v72, v89, v87
	v_fma_f32 v192, v88, v86, -v72
	s_waitcnt lgkmcnt(1)
	v_mul_f32_e32 v72, v153, v77
	v_add_co_u32 v88, vcc_lo, 0x4150, v82
	v_add_co_ci_u32_e32 v89, vcc_lo, 0, v83, vcc_lo
	v_fma_f32 v174, v152, v76, -v72
	v_mul_f32_e32 v152, v152, v77
	v_mul_f32_e32 v72, v97, v79
	v_add_co_u32 v160, vcc_lo, 0x4000, v82
	v_add_co_ci_u32_e32 v161, vcc_lo, 0, v83, vcc_lo
	v_fmac_f32_e32 v152, v153, v76
	v_fma_f32 v193, v96, v78, -v72
	v_mul_f32_e32 v153, v96, v79
	s_waitcnt vmcnt(0) lgkmcnt(0)
	v_mul_f32_e32 v72, v145, v231
	v_fmac_f32_e32 v153, v97, v78
	v_fma_f32 v194, v144, v230, -v72
	s_clause 0x4
	global_load_dwordx4 v[96:99], v[160:161], off offset:336
	global_load_dwordx4 v[72:75], v[88:89], off offset:48
	;; [unrolled: 1-line block ×4, first 2 shown]
	global_load_dwordx2 v[224:225], v[160:161], off offset:400
	v_mul_f32_e32 v144, v144, v231
	v_sub_f32_e32 v160, v211, v0
	v_sub_f32_e32 v161, v212, v214
	v_fmac_f32_e32 v144, v145, v230
	s_waitcnt vmcnt(4)
	v_mul_f32_e32 v145, v179, v97
	s_waitcnt vmcnt(3)
	v_mul_f32_e32 v208, v148, v75
	v_mul_f32_e32 v202, v172, v99
	s_waitcnt vmcnt(1)
	v_mul_f32_e32 v205, v164, v91
	v_mul_f32_e32 v196, v170, v89
	v_fma_f32 v200, v178, v96, -v145
	v_mul_f32_e32 v145, v173, v99
	v_fmac_f32_e32 v208, v149, v74
	v_fmac_f32_e32 v205, v165, v90
	v_fmac_f32_e32 v196, v171, v88
	v_fmac_f32_e32 v202, v173, v98
	v_fma_f32 v203, v172, v98, -v145
	v_mul_f32_e32 v145, v171, v89
	v_mul_f32_e32 v201, v178, v97
	v_fma_f32 v197, v170, v88, -v145
	v_mul_f32_e32 v145, v165, v91
	v_sub_f32_e32 v165, v0, v214
	v_sub_f32_e32 v170, v210, v195
	v_fmac_f32_e32 v201, v179, v96
	v_fma_f32 v206, v164, v90, -v145
	v_mul_f32_e32 v145, v163, v81
	v_sub_f32_e32 v164, v2, v3
	v_add_f32_e32 v168, v168, v170
	v_sub_f32_e32 v170, v195, v210
	v_fma_f32 v204, v162, v80, -v145
	v_mul_f32_e32 v145, v157, v83
	v_mul_f32_e32 v162, v162, v81
	v_fma_f32 v207, v156, v82, -v145
	v_mul_f32_e32 v145, v155, v73
	v_fmac_f32_e32 v162, v163, v80
	v_mul_f32_e32 v163, v156, v83
	v_fma_f32 v156, v154, v72, -v145
	v_mul_f32_e32 v145, v149, v75
	v_fmac_f32_e32 v163, v157, v82
	v_mul_f32_e32 v154, v154, v73
	v_sub_f32_e32 v149, v3, v2
	v_fma_f32 v209, v148, v74, -v145
	s_waitcnt vmcnt(0)
	v_mul_f32_e32 v145, v147, v225
	v_fmac_f32_e32 v154, v155, v72
	v_mul_f32_e32 v155, v146, v225
	v_sub_f32_e32 v148, v213, v215
	v_fma_f32 v157, v146, v224, -v145
	v_add_f32_e32 v145, v140, v213
	v_fmac_f32_e32 v155, v147, v224
	v_add_f32_e32 v148, v148, v149
	v_add_f32_e32 v145, v145, v215
	;; [unrolled: 1-line block ×5, first 2 shown]
	v_fma_f32 v145, -0.5, v145, v140
	v_fmamk_f32 v147, v160, 0x3f737871, v145
	v_fmac_f32_e32 v145, 0xbf737871, v160
	v_fmac_f32_e32 v147, 0x3f167918, v161
	;; [unrolled: 1-line block ×5, first 2 shown]
	v_add_f32_e32 v148, v213, v3
	v_fma_f32 v148, -0.5, v148, v140
	v_sub_f32_e32 v140, v215, v213
	v_fmamk_f32 v149, v161, 0xbf737871, v148
	v_fmac_f32_e32 v148, 0x3f737871, v161
	v_add_f32_e32 v140, v140, v164
	v_sub_f32_e32 v161, v215, v2
	v_sub_f32_e32 v2, v211, v212
	v_fmac_f32_e32 v149, 0x3f167918, v160
	v_fmac_f32_e32 v148, 0xbf167918, v160
	v_sub_f32_e32 v160, v213, v3
	v_mov_b32_e32 v215, v236
	v_add_f32_e32 v2, v2, v165
	v_fmac_f32_e32 v149, 0x3e9e377a, v140
	v_fmac_f32_e32 v148, 0x3e9e377a, v140
	v_add_f32_e32 v140, v141, v211
	v_sub_f32_e32 v165, v212, v211
	v_add_f32_e32 v140, v140, v212
	v_add_f32_e32 v140, v140, v214
	;; [unrolled: 1-line block ×4, first 2 shown]
	v_fma_f32 v140, -0.5, v140, v141
	v_fmamk_f32 v3, v160, 0xbf737871, v140
	v_fmac_f32_e32 v140, 0x3f737871, v160
	v_fmac_f32_e32 v3, 0xbf167918, v161
	;; [unrolled: 1-line block ×5, first 2 shown]
	v_add_f32_e32 v2, v211, v0
	v_sub_f32_e32 v0, v214, v0
	v_add_nc_u32_e32 v214, 0x4c00, v108
	v_fma_f32 v141, -0.5, v2, v141
	v_add_f32_e32 v0, v165, v0
	v_fmamk_f32 v2, v161, 0x3f737871, v141
	v_fmac_f32_e32 v141, 0xbf737871, v161
	v_sub_f32_e32 v161, v166, v167
	v_fmac_f32_e32 v2, 0xbf167918, v160
	v_fmac_f32_e32 v141, 0x3f167918, v160
	v_add_f32_e32 v160, v186, v195
	v_fmac_f32_e32 v2, 0x3e9e377a, v0
	v_fmac_f32_e32 v141, 0x3e9e377a, v0
	v_fma_f32 v165, -0.5, v160, v182
	v_sub_f32_e32 v160, v184, v187
	v_add_f32_e32 v0, v182, v185
	v_fmamk_f32 v169, v160, 0x3f737871, v165
	v_fmac_f32_e32 v165, 0xbf737871, v160
	v_add_f32_e32 v0, v0, v186
	v_fmac_f32_e32 v169, 0x3f167918, v161
	v_fmac_f32_e32 v165, 0xbf167918, v161
	v_add_f32_e32 v0, v0, v195
	v_fmac_f32_e32 v169, 0x3e9e377a, v168
	v_fmac_f32_e32 v165, 0x3e9e377a, v168
	v_add_f32_e32 v168, v185, v210
	v_add_f32_e32 v0, v0, v210
	v_fmac_f32_e32 v182, -0.5, v168
	v_sub_f32_e32 v168, v186, v185
	v_fmamk_f32 v171, v161, 0xbf737871, v182
	v_fmac_f32_e32 v182, 0x3f737871, v161
	v_add_f32_e32 v168, v168, v170
	v_sub_f32_e32 v161, v186, v195
	v_sub_f32_e32 v170, v187, v167
	v_fmac_f32_e32 v171, 0x3f167918, v160
	v_fmac_f32_e32 v182, 0xbf167918, v160
	v_add_f32_e32 v160, v183, v184
	v_mul_f32_e32 v195, 0xbf4f1bbd, v165
	v_sub_f32_e32 v186, v146, v0
	v_fmac_f32_e32 v171, 0x3e9e377a, v168
	v_fmac_f32_e32 v182, 0x3e9e377a, v168
	v_add_f32_e32 v160, v160, v166
	v_sub_f32_e32 v168, v184, v166
	v_mul_f32_e32 v211, 0xbf737871, v171
	v_add_f32_e32 v160, v160, v167
	v_add_f32_e32 v168, v168, v170
	;; [unrolled: 1-line block ×4, first 2 shown]
	v_sub_f32_e32 v166, v166, v184
	v_sub_f32_e32 v167, v167, v187
	v_fma_f32 v176, -0.5, v160, v183
	v_sub_f32_e32 v160, v185, v210
	v_add_f32_e32 v166, v166, v167
	v_mul_f32_e32 v210, 0xbf167918, v169
	v_fmamk_f32 v173, v160, 0xbf737871, v176
	v_fmac_f32_e32 v176, 0x3f737871, v160
	v_fmac_f32_e32 v173, 0xbf167918, v161
	;; [unrolled: 1-line block ×5, first 2 shown]
	v_add_f32_e32 v168, v184, v187
	v_mul_f32_e32 v187, 0xbe9e377a, v182
	v_mul_f32_e32 v179, 0x3f167918, v173
	v_fmac_f32_e32 v210, 0x3f4f1bbd, v173
	v_fmac_f32_e32 v183, -0.5, v168
	v_mul_f32_e32 v213, 0xbf4f1bbd, v176
	v_fmac_f32_e32 v195, 0x3f167918, v176
	v_fmac_f32_e32 v179, 0x3f4f1bbd, v169
	v_add_f32_e32 v173, v3, v210
	v_fmamk_f32 v178, v161, 0x3f737871, v183
	v_fmac_f32_e32 v183, 0xbf737871, v161
	v_fmac_f32_e32 v213, 0xbf167918, v165
	v_add_f32_e32 v172, v147, v179
	v_add_f32_e32 v161, v164, v177
	v_fmac_f32_e32 v178, 0xbf167918, v160
	v_fmac_f32_e32 v183, 0x3f167918, v160
	v_add_f32_e32 v160, v146, v0
	v_add_f32_e32 v167, v140, v213
	v_sub_f32_e32 v184, v147, v179
	v_fmac_f32_e32 v178, 0x3e9e377a, v166
	v_fmac_f32_e32 v183, 0x3e9e377a, v166
	v_add_f32_e32 v166, v145, v195
	v_sub_f32_e32 v176, v145, v195
	v_sub_f32_e32 v145, v189, v191
	v_mul_f32_e32 v185, 0x3f737871, v178
	v_fmac_f32_e32 v211, 0x3e9e377a, v178
	v_fmac_f32_e32 v187, 0x3f737871, v183
	v_mul_f32_e32 v212, 0xbe9e377a, v183
	v_sub_f32_e32 v146, v193, v192
	v_fmac_f32_e32 v185, 0x3e9e377a, v171
	v_add_f32_e32 v171, v2, v211
	v_sub_f32_e32 v183, v2, v211
	v_add_f32_e32 v2, v191, v192
	v_fmac_f32_e32 v212, 0xbf737871, v182
	v_add_f32_e32 v170, v149, v185
	v_sub_f32_e32 v182, v149, v185
	v_sub_f32_e32 v185, v3, v210
	v_fma_f32 v2, -0.5, v2, v142
	v_sub_f32_e32 v3, v175, v153
	v_add_f32_e32 v168, v148, v187
	v_add_f32_e32 v169, v141, v212
	v_sub_f32_e32 v178, v148, v187
	v_sub_f32_e32 v187, v164, v177
	;; [unrolled: 1-line block ×4, first 2 shown]
	v_fmamk_f32 v140, v3, 0x3f737871, v2
	v_sub_f32_e32 v141, v188, v190
	v_fmac_f32_e32 v2, 0xbf737871, v3
	v_add_f32_e32 v145, v145, v146
	v_add_f32_e32 v0, v142, v189
	v_sub_f32_e32 v146, v191, v189
	v_fmac_f32_e32 v140, 0x3f167918, v141
	v_fmac_f32_e32 v2, 0xbf167918, v141
	v_sub_f32_e32 v147, v192, v193
	v_sub_f32_e32 v148, v175, v188
	;; [unrolled: 1-line block ×3, first 2 shown]
	v_fmac_f32_e32 v140, 0x3e9e377a, v145
	v_fmac_f32_e32 v2, 0x3e9e377a, v145
	v_add_f32_e32 v145, v189, v193
	v_add_f32_e32 v146, v146, v147
	;; [unrolled: 1-line block ×3, first 2 shown]
	v_sub_f32_e32 v149, v190, v153
	v_sub_f32_e32 v164, v158, v159
	v_fma_f32 v142, -0.5, v145, v142
	v_sub_f32_e32 v165, v194, v174
	v_add_f32_e32 v0, v0, v191
	v_add_nc_u32_e32 v211, 0x1400, v108
	v_fmamk_f32 v145, v141, 0xbf737871, v142
	v_fmac_f32_e32 v142, 0x3f737871, v141
	v_add_f32_e32 v141, v188, v190
	v_add_f32_e32 v164, v164, v165
	;; [unrolled: 1-line block ×3, first 2 shown]
	v_fmac_f32_e32 v145, 0x3f167918, v3
	v_fmac_f32_e32 v142, 0xbf167918, v3
	v_fma_f32 v210, -0.5, v141, v143
	v_sub_f32_e32 v141, v189, v193
	v_add_f32_e32 v3, v143, v175
	v_fmac_f32_e32 v145, 0x3e9e377a, v146
	v_fmac_f32_e32 v142, 0x3e9e377a, v146
	v_sub_f32_e32 v146, v191, v192
	v_fmamk_f32 v147, v141, 0xbf737871, v210
	v_fmac_f32_e32 v210, 0x3f737871, v141
	v_add_f32_e32 v3, v3, v188
	v_add_f32_e32 v0, v0, v193
	v_fmac_f32_e32 v147, 0xbf167918, v146
	v_fmac_f32_e32 v210, 0x3f167918, v146
	v_add_f32_e32 v3, v3, v190
	v_fmac_f32_e32 v147, 0x3e9e377a, v148
	v_fmac_f32_e32 v210, 0x3e9e377a, v148
	v_add_f32_e32 v148, v175, v153
	v_add_f32_e32 v3, v3, v153
	v_sub_f32_e32 v153, v151, v152
	v_fmac_f32_e32 v143, -0.5, v148
	v_sub_f32_e32 v148, v188, v175
	v_sub_f32_e32 v175, v174, v194
	v_fmamk_f32 v189, v146, 0x3f737871, v143
	v_fmac_f32_e32 v143, 0xbf737871, v146
	v_add_f32_e32 v148, v148, v149
	v_add_f32_e32 v146, v159, v174
	v_fmac_f32_e32 v189, 0xbf167918, v141
	v_fmac_f32_e32 v143, 0x3f167918, v141
	v_add_f32_e32 v141, v138, v158
	v_fma_f32 v146, -0.5, v146, v138
	v_fmac_f32_e32 v189, 0x3e9e377a, v148
	v_fmac_f32_e32 v143, 0x3e9e377a, v148
	v_sub_f32_e32 v148, v150, v144
	v_add_f32_e32 v141, v141, v159
	v_fmamk_f32 v149, v148, 0x3f737871, v146
	v_fmac_f32_e32 v146, 0xbf737871, v148
	v_add_f32_e32 v141, v141, v174
	v_fmac_f32_e32 v149, 0x3f167918, v153
	v_fmac_f32_e32 v146, 0xbf167918, v153
	v_add_f32_e32 v141, v141, v194
	v_fmac_f32_e32 v149, 0x3e9e377a, v164
	v_fmac_f32_e32 v146, 0x3e9e377a, v164
	v_add_f32_e32 v164, v158, v194
	v_mul_f32_e32 v193, 0xbf167918, v149
	v_mul_f32_e32 v192, 0xbf4f1bbd, v146
	v_fmac_f32_e32 v138, -0.5, v164
	v_sub_f32_e32 v164, v159, v158
	v_sub_f32_e32 v158, v158, v194
	;; [unrolled: 1-line block ×4, first 2 shown]
	v_fmamk_f32 v165, v153, 0xbf737871, v138
	v_fmac_f32_e32 v138, 0x3f737871, v153
	v_add_f32_e32 v164, v164, v175
	v_add_f32_e32 v194, v0, v141
	v_fmac_f32_e32 v165, 0x3f167918, v148
	v_fmac_f32_e32 v138, 0xbf167918, v148
	v_add_f32_e32 v148, v139, v150
	v_fmac_f32_e32 v165, 0x3e9e377a, v164
	v_fmac_f32_e32 v138, 0x3e9e377a, v164
	v_add_f32_e32 v148, v148, v151
	v_sub_f32_e32 v164, v150, v151
	v_mul_f32_e32 v188, 0xbe9e377a, v138
	v_add_f32_e32 v148, v148, v152
	v_add_f32_e32 v164, v164, v174
	;; [unrolled: 1-line block ×5, first 2 shown]
	v_fma_f32 v148, -0.5, v148, v139
	v_fmamk_f32 v175, v158, 0xbf737871, v148
	v_fmac_f32_e32 v148, 0x3f737871, v158
	v_fmac_f32_e32 v175, 0xbf167918, v159
	;; [unrolled: 1-line block ×5, first 2 shown]
	v_add_f32_e32 v164, v150, v144
	v_sub_f32_e32 v150, v151, v150
	v_sub_f32_e32 v144, v152, v144
	v_fmac_f32_e32 v193, 0x3f4f1bbd, v175
	v_fmac_f32_e32 v192, 0x3f167918, v148
	v_fmac_f32_e32 v139, -0.5, v164
	v_add_f32_e32 v144, v150, v144
	v_add_f32_e32 v191, v147, v193
	;; [unrolled: 1-line block ×3, first 2 shown]
	v_fmamk_f32 v174, v159, 0x3f737871, v139
	v_fmac_f32_e32 v139, 0xbf737871, v159
	v_sub_f32_e32 v147, v147, v193
	v_sub_f32_e32 v193, v156, v157
	v_fmac_f32_e32 v174, 0xbf167918, v158
	v_fmac_f32_e32 v139, 0x3f167918, v158
	;; [unrolled: 1-line block ×4, first 2 shown]
	v_mul_f32_e32 v144, 0x3f167918, v175
	v_mul_f32_e32 v175, 0xbf737871, v165
	;; [unrolled: 1-line block ×3, first 2 shown]
	v_fmac_f32_e32 v188, 0x3f737871, v139
	v_mul_f32_e32 v139, 0xbe9e377a, v139
	v_fmac_f32_e32 v144, 0x3f4f1bbd, v149
	v_fmac_f32_e32 v175, 0x3e9e377a, v174
	;; [unrolled: 1-line block ×3, first 2 shown]
	v_mul_f32_e32 v174, 0xbf4f1bbd, v148
	v_fmac_f32_e32 v139, 0xbf737871, v138
	v_sub_f32_e32 v138, v2, v192
	v_add_f32_e32 v2, v206, v207
	v_sub_f32_e32 v149, v3, v153
	v_sub_f32_e32 v3, v202, v208
	v_add_f32_e32 v190, v140, v144
	v_add_f32_e32 v164, v145, v152
	v_fma_f32 v2, -0.5, v2, v136
	v_add_f32_e32 v158, v142, v188
	v_add_f32_e32 v159, v143, v139
	v_fmac_f32_e32 v174, 0xbf167918, v146
	v_sub_f32_e32 v148, v0, v141
	v_sub_f32_e32 v146, v140, v144
	;; [unrolled: 1-line block ×5, first 2 shown]
	v_fmamk_f32 v142, v3, 0x3f737871, v2
	v_sub_f32_e32 v143, v205, v163
	v_sub_f32_e32 v152, v203, v206
	;; [unrolled: 1-line block ×3, first 2 shown]
	v_fmac_f32_e32 v2, 0xbf737871, v3
	v_add_f32_e32 v0, v136, v203
	v_fmac_f32_e32 v142, 0x3f167918, v143
	v_add_f32_e32 v151, v210, v174
	v_add_f32_e32 v152, v152, v153
	v_fmac_f32_e32 v2, 0xbf167918, v143
	v_sub_f32_e32 v139, v210, v174
	v_sub_f32_e32 v153, v206, v203
	v_sub_f32_e32 v174, v207, v209
	v_fmac_f32_e32 v142, 0x3e9e377a, v152
	v_fmac_f32_e32 v2, 0x3e9e377a, v152
	v_add_f32_e32 v152, v203, v209
	v_add_f32_e32 v165, v189, v175
	;; [unrolled: 1-line block ×3, first 2 shown]
	v_sub_f32_e32 v145, v189, v175
	v_sub_f32_e32 v174, v206, v207
	v_fma_f32 v136, -0.5, v152, v136
	v_sub_f32_e32 v175, v202, v205
	v_sub_f32_e32 v188, v208, v163
	;; [unrolled: 1-line block ×4, first 2 shown]
	v_fmamk_f32 v152, v143, 0xbf737871, v136
	v_fmac_f32_e32 v136, 0x3f737871, v143
	v_add_f32_e32 v143, v205, v163
	v_add_f32_e32 v175, v175, v188
	v_sub_f32_e32 v188, v162, v154
	v_fmac_f32_e32 v152, 0x3f167918, v3
	v_fmac_f32_e32 v136, 0xbf167918, v3
	v_fma_f32 v210, -0.5, v143, v137
	v_sub_f32_e32 v143, v203, v209
	v_add_f32_e32 v3, v137, v202
	v_fmac_f32_e32 v152, 0x3e9e377a, v153
	v_fmac_f32_e32 v136, 0x3e9e377a, v153
	v_add_f32_e32 v189, v189, v192
	v_fmamk_f32 v153, v143, 0xbf737871, v210
	v_fmac_f32_e32 v210, 0x3f737871, v143
	v_add_f32_e32 v3, v3, v205
	v_sub_f32_e32 v192, v204, v197
	v_add_f32_e32 v0, v0, v206
	v_fmac_f32_e32 v153, 0xbf167918, v174
	v_fmac_f32_e32 v210, 0x3f167918, v174
	v_add_f32_e32 v3, v3, v163
	v_sub_f32_e32 v163, v163, v208
	v_add_f32_e32 v192, v192, v193
	v_fmac_f32_e32 v153, 0x3e9e377a, v175
	v_fmac_f32_e32 v210, 0x3e9e377a, v175
	v_add_f32_e32 v175, v202, v208
	v_add_f32_e32 v0, v0, v207
	;; [unrolled: 1-line block ×3, first 2 shown]
	v_fmac_f32_e32 v137, -0.5, v175
	v_sub_f32_e32 v175, v205, v202
	v_add_f32_e32 v0, v0, v209
	v_mov_b32_e32 v209, v7
	v_fmamk_f32 v203, v174, 0x3f737871, v137
	v_fmac_f32_e32 v137, 0xbf737871, v174
	v_add_f32_e32 v163, v175, v163
	v_sub_f32_e32 v174, v196, v155
	v_fmac_f32_e32 v203, 0xbf167918, v143
	v_fmac_f32_e32 v137, 0x3f167918, v143
	v_add_f32_e32 v143, v200, v197
	v_fmac_f32_e32 v203, 0x3e9e377a, v163
	v_fmac_f32_e32 v137, 0x3e9e377a, v163
	v_add_f32_e32 v163, v204, v156
	v_add_f32_e32 v143, v143, v204
	v_fma_f32 v163, -0.5, v163, v200
	v_add_f32_e32 v143, v143, v156
	v_sub_f32_e32 v156, v204, v156
	v_fmamk_f32 v175, v174, 0x3f737871, v163
	v_fmac_f32_e32 v163, 0xbf737871, v174
	v_add_f32_e32 v143, v143, v157
	v_fmac_f32_e32 v175, 0x3f167918, v188
	v_fmac_f32_e32 v163, 0xbf167918, v188
	;; [unrolled: 1-line block ×4, first 2 shown]
	v_add_f32_e32 v189, v197, v157
	v_sub_f32_e32 v157, v197, v157
	v_mul_f32_e32 v207, 0xbf167918, v175
	v_mul_f32_e32 v206, 0xbf4f1bbd, v163
	v_fmac_f32_e32 v200, -0.5, v189
	v_fmamk_f32 v189, v188, 0xbf737871, v200
	v_fmac_f32_e32 v200, 0x3f737871, v188
	v_sub_f32_e32 v188, v155, v154
	v_fmac_f32_e32 v189, 0x3f167918, v174
	v_fmac_f32_e32 v200, 0xbf167918, v174
	v_add_f32_e32 v174, v201, v196
	v_fmac_f32_e32 v189, 0x3e9e377a, v192
	v_fmac_f32_e32 v200, 0x3e9e377a, v192
	v_add_f32_e32 v174, v174, v162
	v_mul_f32_e32 v208, 0xbf737871, v189
	v_add_f32_e32 v174, v174, v154
	v_add_f32_e32 v202, v174, v155
	;; [unrolled: 1-line block ×3, first 2 shown]
	v_sub_f32_e32 v154, v154, v155
	v_add_f32_e32 v197, v3, v202
	v_fma_f32 v205, -0.5, v174, v201
	v_sub_f32_e32 v174, v196, v162
	v_sub_f32_e32 v162, v162, v196
	v_fmamk_f32 v193, v157, 0xbf737871, v205
	v_fmac_f32_e32 v205, 0x3f737871, v157
	v_add_f32_e32 v174, v174, v188
	v_add_f32_e32 v154, v162, v154
	v_fmac_f32_e32 v193, 0xbf167918, v156
	v_fmac_f32_e32 v205, 0x3f167918, v156
	v_fmac_f32_e32 v193, 0x3e9e377a, v174
	v_fmac_f32_e32 v205, 0x3e9e377a, v174
	v_add_f32_e32 v174, v196, v155
	v_add_f32_e32 v196, v0, v143
	v_fmac_f32_e32 v207, 0x3f4f1bbd, v193
	v_fmac_f32_e32 v206, 0x3f167918, v205
	v_fmac_f32_e32 v201, -0.5, v174
	v_add_f32_e32 v162, v2, v206
	v_fmamk_f32 v204, v156, 0x3f737871, v201
	v_fmac_f32_e32 v201, 0xbf737871, v156
	v_sub_f32_e32 v156, v0, v143
	v_fmac_f32_e32 v204, 0xbf167918, v157
	v_fmac_f32_e32 v201, 0x3f167918, v157
	v_mul_f32_e32 v157, 0xbe9e377a, v200
	v_fmac_f32_e32 v204, 0x3e9e377a, v154
	v_fmac_f32_e32 v201, 0x3e9e377a, v154
	v_mul_f32_e32 v154, 0x3f167918, v193
	v_add_f32_e32 v193, v153, v207
	v_mul_f32_e32 v155, 0x3f737871, v204
	v_fmac_f32_e32 v157, 0x3f737871, v201
	v_mul_f32_e32 v201, 0xbe9e377a, v201
	v_fmac_f32_e32 v154, 0x3f4f1bbd, v175
	v_fmac_f32_e32 v208, 0x3e9e377a, v204
	;; [unrolled: 1-line block ×3, first 2 shown]
	v_add_f32_e32 v174, v136, v157
	v_fmac_f32_e32 v201, 0xbf737871, v200
	v_mul_f32_e32 v200, 0xbf4f1bbd, v205
	v_add_f32_e32 v192, v142, v154
	v_add_f32_e32 v188, v152, v155
	;; [unrolled: 1-line block ×4, first 2 shown]
	v_fmac_f32_e32 v200, 0xbf167918, v163
	v_sub_f32_e32 v154, v142, v154
	v_sub_f32_e32 v152, v152, v155
	;; [unrolled: 1-line block ×4, first 2 shown]
	v_add_f32_e32 v163, v210, v200
	v_sub_f32_e32 v157, v3, v202
	v_sub_f32_e32 v155, v153, v207
	;; [unrolled: 1-line block ×5, first 2 shown]
	ds_write_b64 v108, v[172:173] offset:2400
	ds_write_b64 v108, v[170:171] offset:4800
	;; [unrolled: 1-line block ×9, first 2 shown]
	ds_write2_b64 v108, v[160:161], v[194:195] offset1:100
	ds_write_b64 v108, v[196:197] offset:1600
	ds_write2_b64 v235, v[190:191], v[192:193] offset0:144 offset1:244
	ds_write2_b64 v211, v[164:165], v[188:189] offset0:60 offset1:160
	ds_write2_b64 v6, v[158:159], v[174:175] offset0:104 offset1:204
	ds_write2_b64 v1, v[150:151], v[162:163] offset0:20 offset1:120
	ds_write2_b64 v4, v[148:149], v[156:157] offset0:64 offset1:164
	ds_write2_b64 v5, v[146:147], v[154:155] offset0:108 offset1:208
	ds_write2_b64 v245, v[144:145], v[152:153] offset0:152 offset1:252
	ds_write2_b64 v214, v[140:141], v[142:143] offset0:68 offset1:168
	ds_write2_b64 v7, v[138:139], v[136:137] offset0:112 offset1:212
	s_waitcnt lgkmcnt(0)
	s_barrier
	buffer_gl0_inv
	global_load_dwordx2 v[2:3], v[180:181], off offset:1472
	ds_read2_b64 v[142:145], v108 offset1:100
	v_add_co_u32 v174, vcc_lo, 0x5dc0, v198
	v_add_co_ci_u32_e32 v175, vcc_lo, 0, v199, vcc_lo
	v_mov_b32_e32 v160, v1
	v_mov_b32_e32 v210, v6
	;; [unrolled: 1-line block ×3, first 2 shown]
	v_add_nc_u32_e32 v7, 0x5000, v108
	v_mov_b32_e32 v208, v4
	v_mov_b32_e32 v5, v160
	;; [unrolled: 1-line block ×4, first 2 shown]
	s_waitcnt vmcnt(0) lgkmcnt(0)
	v_mul_f32_e32 v0, v143, v3
	v_mul_f32_e32 v137, v142, v3
	v_fma_f32 v136, v142, v2, -v0
	v_fmac_f32_e32 v137, v143, v2
	v_add_co_u32 v2, vcc_lo, 0x6000, v198
	v_add_co_ci_u32_e32 v3, vcc_lo, 0, v199, vcc_lo
	ds_write_b64 v108, v[136:137]
	ds_read2_b64 v[154:157], v236 offset0:72 offset1:172
	v_add_co_u32 v172, vcc_lo, 0x7000, v198
	global_load_dwordx2 v[2:3], v[2:3], off offset:1824
	v_add_co_ci_u32_e32 v173, vcc_lo, 0, v199, vcc_lo
	ds_read2_b64 v[150:153], v237 offset0:32 offset1:132
	ds_read2_b64 v[178:181], v239 offset0:48 offset1:148
	;; [unrolled: 1-line block ×7, first 2 shown]
	v_mov_b32_e32 v244, v237
	v_mov_b32_e32 v239, v235
	v_mov_b32_e32 v236, v245
	s_waitcnt vmcnt(0) lgkmcnt(7)
	v_mul_f32_e32 v0, v157, v3
	v_mul_f32_e32 v195, v156, v3
	v_fma_f32 v194, v156, v2, -v0
	v_fmac_f32_e32 v195, v157, v2
	global_load_dwordx2 v[2:3], v[172:173], off offset:128
	ds_read2_b64 v[156:159], v238 offset0:88 offset1:188
	s_waitcnt vmcnt(0) lgkmcnt(0)
	v_mul_f32_e32 v0, v157, v3
	v_mul_f32_e32 v177, v156, v3
	v_fma_f32 v176, v156, v2, -v0
	v_fmac_f32_e32 v177, v157, v2
	v_add_co_u32 v2, vcc_lo, 0x7800, v198
	v_add_co_ci_u32_e32 v3, vcc_lo, 0, v199, vcc_lo
	v_add_co_u32 v164, vcc_lo, 0x8000, v198
	v_add_co_ci_u32_e32 v165, vcc_lo, 0, v199, vcc_lo
	global_load_dwordx2 v[136:137], v[2:3], off offset:480
	v_add_co_u32 v166, vcc_lo, 0x8800, v198
	v_add_co_ci_u32_e32 v167, vcc_lo, 0, v199, vcc_lo
	v_add_co_u32 v170, vcc_lo, 0x9000, v198
	v_add_co_ci_u32_e32 v171, vcc_lo, 0, v199, vcc_lo
	global_load_dwordx2 v[2:3], v[2:3], off offset:1280
	s_waitcnt vmcnt(1)
	v_mul_f32_e32 v0, v153, v137
	v_mul_f32_e32 v157, v152, v137
	v_fma_f32 v156, v152, v136, -v0
	v_fmac_f32_e32 v157, v153, v136
	global_load_dwordx2 v[136:137], v[164:165], off offset:832
	v_add_co_u32 v152, vcc_lo, 0x9800, v198
	v_add_co_ci_u32_e32 v153, vcc_lo, 0, v199, vcc_lo
	s_waitcnt vmcnt(0)
	v_mul_f32_e32 v0, v179, v137
	v_mul_f32_e32 v163, v178, v137
	v_fma_f32 v162, v178, v136, -v0
	v_fmac_f32_e32 v163, v179, v136
	global_load_dwordx2 v[136:137], v[166:167], off offset:1184
	s_waitcnt vmcnt(0)
	v_mul_f32_e32 v0, v149, v137
	v_mul_f32_e32 v179, v148, v137
	v_fma_f32 v178, v148, v136, -v0
	v_fmac_f32_e32 v179, v149, v136
	global_load_dwordx2 v[136:137], v[170:171], off offset:1536
	v_add_co_u32 v148, vcc_lo, 0xa800, v198
	v_add_co_ci_u32_e32 v149, vcc_lo, 0, v199, vcc_lo
	s_waitcnt vmcnt(0)
	v_mul_f32_e32 v0, v183, v137
	v_mul_f32_e32 v169, v182, v137
	v_fma_f32 v168, v182, v136, -v0
	v_fmac_f32_e32 v169, v183, v136
	global_load_dwordx2 v[136:137], v[152:153], off offset:1888
	s_waitcnt vmcnt(0)
	v_mul_f32_e32 v0, v143, v137
	v_mul_f32_e32 v201, v142, v137
	v_fma_f32 v200, v142, v136, -v0
	v_fmac_f32_e32 v201, v143, v136
	global_load_dwordx2 v[136:137], v[148:149], off offset:192
	s_waitcnt vmcnt(0)
	v_mul_f32_e32 v0, v187, v137
	v_mul_f32_e32 v161, v186, v137
	v_fma_f32 v160, v186, v136, -v0
	v_add_co_u32 v186, vcc_lo, 0xb000, v198
	v_fmac_f32_e32 v161, v187, v136
	v_add_co_ci_u32_e32 v187, vcc_lo, 0, v199, vcc_lo
	ds_read2_b64 v[136:139], v7 offset0:40 offset1:140
	v_add_co_u32 v206, vcc_lo, 0x6800, v198
	global_load_dwordx2 v[142:143], v[186:187], off offset:544
	v_add_co_ci_u32_e32 v207, vcc_lo, 0, v199, vcc_lo
	s_waitcnt vmcnt(0) lgkmcnt(0)
	v_mul_f32_e32 v0, v139, v143
	v_mul_f32_e32 v203, v138, v143
	v_fma_f32 v202, v138, v142, -v0
	v_fmac_f32_e32 v203, v139, v142
	global_load_dwordx2 v[138:139], v[174:175], off offset:800
	s_waitcnt vmcnt(0)
	v_mul_f32_e32 v0, v145, v139
	v_mul_f32_e32 v205, v144, v139
	v_fma_f32 v204, v144, v138, -v0
	v_fmac_f32_e32 v205, v145, v138
	global_load_dwordx2 v[138:139], v[206:207], off offset:576
	s_waitcnt vmcnt(0)
	v_mul_f32_e32 v0, v191, v139
	v_mul_f32_e32 v143, v190, v139
	v_fma_f32 v142, v190, v138, -v0
	v_fmac_f32_e32 v143, v191, v138
	global_load_dwordx2 v[138:139], v[172:173], off offset:928
	ds_write2_b64 v235, v[194:195], v[142:143] offset0:44 offset1:144
	ds_read2_b64 v[194:197], v210 offset0:104 offset1:204
	ds_read2_b64 v[142:145], v209 offset0:112 offset1:212
	v_mov_b32_e32 v235, v210
	s_waitcnt vmcnt(0)
	v_mul_f32_e32 v0, v159, v139
	v_mul_f32_e32 v191, v158, v139
	s_waitcnt lgkmcnt(1)
	v_mul_f32_e32 v139, v194, v3
	v_fma_f32 v190, v158, v138, -v0
	v_mul_f32_e32 v0, v195, v3
	v_fmac_f32_e32 v191, v159, v138
	v_fmac_f32_e32 v139, v195, v2
	v_fma_f32 v138, v194, v2, -v0
	global_load_dwordx2 v[2:3], v[164:165], off offset:1632
	ds_write2_b64 v237, v[156:157], v[138:139] offset0:132 offset1:232
	ds_read2_b64 v[156:159], v245 offset0:152 offset1:252
	v_mov_b32_e32 v237, v208
	s_waitcnt vmcnt(0)
	v_mul_f32_e32 v0, v181, v3
	v_mul_f32_e32 v195, v180, v3
	v_fma_f32 v194, v180, v2, -v0
	v_fmac_f32_e32 v195, v181, v2
	global_load_dwordx2 v[2:3], v[166:167], off offset:1984
	ds_read2_b64 v[180:183], v208 offset0:64 offset1:164
	s_waitcnt vmcnt(0) lgkmcnt(0)
	v_mul_f32_e32 v0, v181, v3
	v_mul_f32_e32 v139, v180, v3
	v_fma_f32 v138, v180, v2, -v0
	v_fmac_f32_e32 v139, v181, v2
	global_load_dwordx2 v[2:3], v[152:153], off offset:288
	v_add_nc_u32_e32 v0, 0x2c00, v108
	v_add_co_u32 v180, vcc_lo, 0xa000, v198
	v_add_co_ci_u32_e32 v181, vcc_lo, 0, v199, vcc_lo
	ds_write2_b64 v0, v[178:179], v[138:139] offset0:92 offset1:192
	s_waitcnt vmcnt(0)
	v_mul_f32_e32 v0, v185, v3
	v_mul_f32_e32 v179, v184, v3
	v_fma_f32 v178, v184, v2, -v0
	v_fmac_f32_e32 v179, v185, v2
	global_load_dwordx2 v[2:3], v[180:181], off offset:640
	s_waitcnt vmcnt(0)
	v_mul_f32_e32 v0, v157, v3
	v_mul_f32_e32 v139, v156, v3
	v_fma_f32 v138, v156, v2, -v0
	v_fmac_f32_e32 v139, v157, v2
	global_load_dwordx2 v[2:3], v[148:149], off offset:992
	ds_write2_b64 v245, v[200:201], v[138:139] offset0:52 offset1:152
	v_mov_b32_e32 v245, v209
	s_waitcnt vmcnt(0)
	v_mul_f32_e32 v0, v189, v3
	v_mul_f32_e32 v139, v188, v3
	v_fma_f32 v138, v188, v2, -v0
	v_fmac_f32_e32 v139, v189, v2
	global_load_dwordx2 v[2:3], v[186:187], off offset:1344
	s_waitcnt vmcnt(0)
	v_mul_f32_e32 v0, v143, v3
	v_mul_f32_e32 v157, v142, v3
	v_fma_f32 v156, v142, v2, -v0
	v_fmac_f32_e32 v157, v143, v2
	global_load_dwordx2 v[2:3], v[174:175], off offset:1600
	ds_write2_b64 v7, v[202:203], v[156:157] offset0:140 offset1:240
	s_waitcnt vmcnt(0)
	v_mul_f32_e32 v0, v155, v3
	v_mul_f32_e32 v143, v154, v3
	v_fma_f32 v142, v154, v2, -v0
	v_fmac_f32_e32 v143, v155, v2
	global_load_dwordx2 v[2:3], v[206:207], off offset:1376
	ds_write2_b64 v108, v[204:205], v[142:143] offset0:100 offset1:200
	s_waitcnt vmcnt(0)
	v_mul_f32_e32 v0, v193, v3
	v_mul_f32_e32 v143, v192, v3
	v_fma_f32 v142, v192, v2, -v0
	v_fmac_f32_e32 v143, v193, v2
	global_load_dwordx2 v[2:3], v[172:173], off offset:1728
	v_add_nc_u32_e32 v0, 0xc00, v108
	ds_write2_b64 v0, v[142:143], v[176:177] offset0:116 offset1:216
	s_waitcnt vmcnt(0)
	v_mul_f32_e32 v0, v151, v3
	v_mul_f32_e32 v143, v150, v3
	v_fma_f32 v142, v150, v2, -v0
	v_fmac_f32_e32 v143, v151, v2
	global_load_dwordx2 v[2:3], v[164:165], off offset:32
	ds_write2_b64 v211, v[190:191], v[142:143] offset0:60 offset1:160
	s_waitcnt vmcnt(0)
	v_mul_f32_e32 v0, v197, v3
	v_mul_f32_e32 v143, v196, v3
	v_fma_f32 v142, v196, v2, -v0
	v_fmac_f32_e32 v143, v197, v2
	global_load_dwordx2 v[2:3], v[166:167], off offset:384
	v_add_nc_u32_e32 v0, 0x2000, v108
	;; [unrolled: 15-line block ×4, first 2 shown]
	ds_write2_b64 v0, v[140:141], v[160:161] offset0:124 offset1:224
	s_waitcnt vmcnt(0)
	v_mul_f32_e32 v0, v137, v3
	v_mul_f32_e32 v141, v136, v3
	v_fma_f32 v140, v136, v2, -v0
	v_fmac_f32_e32 v141, v137, v2
	v_add_co_u32 v2, vcc_lo, 0xb800, v198
	v_add_co_ci_u32_e32 v3, vcc_lo, 0, v199, vcc_lo
	ds_write2_b64 v214, v[138:139], v[140:141] offset0:68 offset1:168
	global_load_dwordx2 v[2:3], v[2:3], off offset:96
	s_waitcnt vmcnt(0)
	v_mul_f32_e32 v0, v145, v3
	v_mul_f32_e32 v137, v144, v3
	v_fma_f32 v136, v144, v2, -v0
	v_fmac_f32_e32 v137, v145, v2
	ds_write_b64 v108, v[136:137] offset:23200
	s_waitcnt lgkmcnt(0)
	s_barrier
	buffer_gl0_inv
	ds_read2_b64 v[156:159], v108 offset1:100
	ds_read2_b64 v[136:139], v215 offset0:72 offset1:172
	ds_read2_b64 v[160:163], v238 offset0:88 offset1:188
	;; [unrolled: 1-line block ×14, first 2 shown]
	s_waitcnt lgkmcnt(0)
	s_barrier
	buffer_gl0_inv
	v_add_f32_e32 v0, v156, v160
	v_sub_f32_e32 v178, v160, v164
	v_sub_f32_e32 v181, v203, v207
	;; [unrolled: 1-line block ×3, first 2 shown]
	v_add_f32_e32 v0, v0, v164
	v_sub_f32_e32 v172, v161, v175
	v_sub_f32_e32 v179, v174, v168
	v_sub_f32_e32 v180, v168, v174
	v_sub_f32_e32 v182, v215, v211
	v_add_f32_e32 v0, v0, v168
	v_sub_f32_e32 v183, v211, v215
	v_add_f32_e32 v178, v178, v179
	v_sub_f32_e32 v179, v164, v160
	v_add_f32_e32 v181, v181, v182
	v_add_f32_e32 v2, v0, v174
	;; [unrolled: 1-line block ×3, first 2 shown]
	v_sub_f32_e32 v168, v164, v168
	v_add_f32_e32 v179, v179, v180
	v_sub_f32_e32 v164, v161, v165
	v_sub_f32_e32 v180, v206, v210
	v_fma_f32 v0, -0.5, v0, v156
	v_sub_f32_e32 v182, v207, v203
	v_fmamk_f32 v3, v172, 0xbf737871, v0
	v_fmac_f32_e32 v0, 0x3f737871, v172
	v_add_f32_e32 v182, v182, v183
	v_fmac_f32_e32 v3, 0xbf167918, v173
	v_fmac_f32_e32 v0, 0x3f167918, v173
	;; [unrolled: 1-line block ×4, first 2 shown]
	v_add_f32_e32 v178, v160, v174
	v_fma_f32 v156, -0.5, v178, v156
	v_fmamk_f32 v178, v173, 0x3f737871, v156
	v_fmac_f32_e32 v156, 0xbf737871, v173
	v_sub_f32_e32 v173, v175, v169
	v_fmac_f32_e32 v178, 0xbf167918, v172
	v_fmac_f32_e32 v156, 0x3f167918, v172
	v_add_f32_e32 v172, v157, v161
	v_add_f32_e32 v164, v164, v173
	v_sub_f32_e32 v173, v202, v206
	v_fmac_f32_e32 v178, 0x3e9e377a, v179
	v_fmac_f32_e32 v156, 0x3e9e377a, v179
	v_add_f32_e32 v172, v172, v165
	v_add_f32_e32 v172, v172, v169
	;; [unrolled: 1-line block ×4, first 2 shown]
	v_fma_f32 v179, -0.5, v172, v157
	v_sub_f32_e32 v172, v160, v174
	v_sub_f32_e32 v174, v214, v210
	v_fmamk_f32 v160, v172, 0x3f737871, v179
	v_fmac_f32_e32 v179, 0xbf737871, v172
	v_add_f32_e32 v173, v173, v174
	v_sub_f32_e32 v174, v206, v202
	v_fmac_f32_e32 v160, 0x3f167918, v168
	v_fmac_f32_e32 v179, 0xbf167918, v168
	;; [unrolled: 1-line block ×4, first 2 shown]
	v_add_f32_e32 v164, v161, v175
	v_sub_f32_e32 v161, v165, v161
	v_sub_f32_e32 v165, v169, v175
	;; [unrolled: 1-line block ×3, first 2 shown]
	v_fma_f32 v157, -0.5, v164, v157
	v_add_f32_e32 v161, v161, v165
	v_add_f32_e32 v165, v206, v210
	;; [unrolled: 1-line block ×3, first 2 shown]
	v_fmamk_f32 v164, v168, 0xbf737871, v157
	v_fmac_f32_e32 v157, 0x3f737871, v168
	v_sub_f32_e32 v168, v203, v215
	v_fma_f32 v165, -0.5, v165, v138
	v_fmac_f32_e32 v164, 0x3f167918, v172
	v_fmac_f32_e32 v157, 0xbf167918, v172
	v_sub_f32_e32 v172, v207, v211
	v_fmamk_f32 v169, v168, 0xbf737871, v165
	v_fmac_f32_e32 v165, 0x3f737871, v168
	v_fmac_f32_e32 v164, 0x3e9e377a, v161
	;; [unrolled: 1-line block ×3, first 2 shown]
	v_add_f32_e32 v161, v138, v202
	v_fmac_f32_e32 v169, 0xbf167918, v172
	v_fmac_f32_e32 v165, 0x3f167918, v172
	v_add_f32_e32 v161, v161, v206
	v_fmac_f32_e32 v169, 0x3e9e377a, v173
	v_fmac_f32_e32 v165, 0x3e9e377a, v173
	v_add_f32_e32 v173, v202, v214
	v_add_f32_e32 v161, v161, v210
	v_fma_f32 v138, -0.5, v173, v138
	v_add_f32_e32 v161, v161, v214
	v_fmamk_f32 v173, v172, 0x3f737871, v138
	v_fmac_f32_e32 v138, 0xbf737871, v172
	v_add_f32_e32 v172, v207, v211
	v_add_f32_e32 v192, v2, v161
	v_fmac_f32_e32 v173, 0xbf167918, v168
	v_fmac_f32_e32 v138, 0x3f167918, v168
	v_add_f32_e32 v168, v139, v203
	v_fmac_f32_e32 v173, 0x3e9e377a, v174
	v_fmac_f32_e32 v138, 0x3e9e377a, v174
	v_fma_f32 v174, -0.5, v172, v139
	v_sub_f32_e32 v172, v202, v214
	v_add_f32_e32 v168, v168, v207
	v_fmamk_f32 v175, v172, 0x3f737871, v174
	v_fmac_f32_e32 v174, 0xbf737871, v172
	v_add_f32_e32 v168, v168, v211
	v_fmac_f32_e32 v175, 0x3f167918, v180
	v_fmac_f32_e32 v174, 0xbf167918, v180
	v_add_f32_e32 v168, v168, v215
	v_fmac_f32_e32 v175, 0x3e9e377a, v181
	v_fmac_f32_e32 v174, 0x3e9e377a, v181
	v_add_f32_e32 v181, v203, v215
	v_add_f32_e32 v193, v185, v168
	v_mul_f32_e32 v184, 0xbf167918, v175
	v_mul_f32_e32 v189, 0xbf167918, v174
	v_fma_f32 v139, -0.5, v181, v139
	v_fmac_f32_e32 v184, 0x3f4f1bbd, v169
	v_mul_f32_e32 v169, 0x3f167918, v169
	v_fmamk_f32 v181, v180, 0xbf737871, v139
	v_fmac_f32_e32 v139, 0x3f737871, v180
	v_fmac_f32_e32 v189, 0xbf4f1bbd, v165
	v_add_f32_e32 v194, v3, v184
	v_sub_f32_e32 v188, v3, v184
	v_fmac_f32_e32 v181, 0x3f167918, v172
	v_fmac_f32_e32 v139, 0xbf167918, v172
	v_sub_f32_e32 v3, v163, v177
	v_fmac_f32_e32 v169, 0x3f4f1bbd, v175
	v_sub_f32_e32 v175, v185, v168
	v_fmac_f32_e32 v181, 0x3e9e377a, v182
	v_fmac_f32_e32 v139, 0x3e9e377a, v182
	v_add_f32_e32 v172, v0, v189
	v_add_f32_e32 v195, v160, v169
	v_mul_f32_e32 v186, 0xbf737871, v181
	v_mul_f32_e32 v187, 0xbf737871, v139
	v_mul_f32_e32 v139, 0xbe9e377a, v139
	v_mul_f32_e32 v191, 0x3e9e377a, v181
	v_fmac_f32_e32 v186, 0x3e9e377a, v173
	v_fmac_f32_e32 v187, 0xbe9e377a, v138
	;; [unrolled: 1-line block ×3, first 2 shown]
	v_mul_f32_e32 v138, 0xbf4f1bbd, v174
	v_sub_f32_e32 v174, v2, v161
	v_add_f32_e32 v2, v166, v170
	v_add_f32_e32 v182, v156, v187
	v_fmac_f32_e32 v191, 0x3f737871, v173
	v_fmac_f32_e32 v138, 0x3f167918, v165
	v_add_f32_e32 v183, v157, v139
	v_fma_f32 v2, -0.5, v2, v158
	v_sub_f32_e32 v184, v156, v187
	v_sub_f32_e32 v185, v157, v139
	v_add_f32_e32 v173, v179, v138
	v_sub_f32_e32 v187, v179, v138
	v_fmamk_f32 v138, v3, 0xbf737871, v2
	v_sub_f32_e32 v139, v167, v171
	v_sub_f32_e32 v156, v162, v166
	;; [unrolled: 1-line block ×3, first 2 shown]
	v_fmac_f32_e32 v2, 0x3f737871, v3
	v_add_f32_e32 v180, v178, v186
	v_fmac_f32_e32 v138, 0xbf167918, v139
	v_sub_f32_e32 v190, v178, v186
	v_add_f32_e32 v156, v156, v157
	v_fmac_f32_e32 v2, 0x3f167918, v139
	v_sub_f32_e32 v186, v0, v189
	v_sub_f32_e32 v189, v160, v169
	v_add_f32_e32 v0, v158, v162
	v_fmac_f32_e32 v138, 0x3e9e377a, v156
	v_fmac_f32_e32 v2, 0x3e9e377a, v156
	v_add_f32_e32 v156, v162, v176
	v_sub_f32_e32 v160, v170, v176
	v_add_f32_e32 v181, v164, v191
	v_sub_f32_e32 v191, v164, v191
	v_sub_f32_e32 v164, v177, v171
	v_fma_f32 v156, -0.5, v156, v158
	v_sub_f32_e32 v158, v166, v162
	v_add_f32_e32 v0, v0, v166
	v_sub_f32_e32 v165, v144, v148
	v_fmamk_f32 v157, v139, 0x3f737871, v156
	v_fmac_f32_e32 v156, 0xbf737871, v139
	v_add_f32_e32 v158, v158, v160
	v_add_f32_e32 v139, v167, v171
	v_sub_f32_e32 v160, v166, v170
	v_fmac_f32_e32 v157, 0xbf167918, v3
	v_fmac_f32_e32 v156, 0x3f167918, v3
	v_add_f32_e32 v3, v159, v163
	v_fma_f32 v139, -0.5, v139, v159
	v_sub_f32_e32 v166, v196, v152
	v_fmac_f32_e32 v157, 0x3e9e377a, v158
	v_fmac_f32_e32 v156, 0x3e9e377a, v158
	v_sub_f32_e32 v158, v162, v176
	v_sub_f32_e32 v162, v163, v167
	v_add_f32_e32 v165, v165, v166
	v_add_f32_e32 v3, v3, v167
	v_sub_f32_e32 v166, v148, v144
	v_fmamk_f32 v161, v158, 0x3f737871, v139
	v_fmac_f32_e32 v139, 0xbf737871, v158
	v_add_f32_e32 v162, v162, v164
	v_sub_f32_e32 v164, v149, v153
	v_add_f32_e32 v0, v0, v170
	v_fmac_f32_e32 v161, 0x3f167918, v160
	v_fmac_f32_e32 v139, 0xbf167918, v160
	v_add_f32_e32 v3, v3, v171
	v_add_f32_e32 v0, v0, v176
	v_fmac_f32_e32 v161, 0x3e9e377a, v162
	v_fmac_f32_e32 v139, 0x3e9e377a, v162
	v_add_f32_e32 v162, v163, v177
	v_add_f32_e32 v3, v3, v177
	v_fmac_f32_e32 v159, -0.5, v162
	v_sub_f32_e32 v162, v167, v163
	v_sub_f32_e32 v163, v171, v177
	;; [unrolled: 1-line block ×3, first 2 shown]
	v_fmamk_f32 v202, v160, 0xbf737871, v159
	v_fmac_f32_e32 v159, 0x3f737871, v160
	v_add_f32_e32 v162, v162, v163
	v_add_f32_e32 v160, v148, v152
	v_add_f32_e32 v166, v166, v167
	v_fmac_f32_e32 v202, 0x3f167918, v158
	v_fmac_f32_e32 v159, 0xbf167918, v158
	v_add_f32_e32 v158, v140, v144
	v_fma_f32 v160, -0.5, v160, v140
	v_fmac_f32_e32 v202, 0x3e9e377a, v162
	v_fmac_f32_e32 v159, 0x3e9e377a, v162
	v_sub_f32_e32 v162, v145, v197
	v_add_f32_e32 v158, v158, v148
	v_sub_f32_e32 v148, v148, v152
	v_fmamk_f32 v163, v162, 0xbf737871, v160
	v_fmac_f32_e32 v160, 0x3f737871, v162
	v_add_f32_e32 v158, v158, v152
	v_sub_f32_e32 v152, v145, v149
	v_fmac_f32_e32 v163, 0xbf167918, v164
	v_fmac_f32_e32 v160, 0x3f167918, v164
	v_add_f32_e32 v158, v158, v196
	v_fmac_f32_e32 v163, 0x3e9e377a, v165
	v_fmac_f32_e32 v160, 0x3e9e377a, v165
	v_add_f32_e32 v165, v144, v196
	v_sub_f32_e32 v144, v144, v196
	v_add_f32_e32 v176, v0, v158
	v_fma_f32 v140, -0.5, v165, v140
	v_fmamk_f32 v165, v164, 0x3f737871, v140
	v_fmac_f32_e32 v140, 0xbf737871, v164
	v_sub_f32_e32 v164, v197, v153
	v_fmac_f32_e32 v165, 0xbf167918, v162
	v_fmac_f32_e32 v140, 0x3f167918, v162
	v_add_f32_e32 v162, v141, v145
	v_add_f32_e32 v152, v152, v164
	v_fmac_f32_e32 v165, 0x3e9e377a, v166
	v_fmac_f32_e32 v140, 0x3e9e377a, v166
	v_add_f32_e32 v162, v162, v149
	v_add_f32_e32 v162, v162, v153
	v_add_f32_e32 v167, v162, v197
	v_add_f32_e32 v162, v149, v153
	v_add_f32_e32 v177, v3, v167
	v_fma_f32 v162, -0.5, v162, v141
	v_sub_f32_e32 v167, v3, v167
	v_sub_f32_e32 v3, v201, v213
	v_fmamk_f32 v166, v144, 0x3f737871, v162
	v_fmac_f32_e32 v162, 0xbf737871, v144
	v_fmac_f32_e32 v166, 0x3f167918, v148
	;; [unrolled: 1-line block ×5, first 2 shown]
	v_add_f32_e32 v152, v145, v197
	v_sub_f32_e32 v145, v149, v145
	v_sub_f32_e32 v149, v153, v197
	v_mul_f32_e32 v153, 0x3f167918, v163
	v_fma_f32 v141, -0.5, v152, v141
	v_add_f32_e32 v145, v145, v149
	v_mul_f32_e32 v149, 0xbf167918, v162
	v_fmac_f32_e32 v153, 0x3f4f1bbd, v166
	v_fmamk_f32 v152, v148, 0xbf737871, v141
	v_fmac_f32_e32 v141, 0x3f737871, v148
	v_fmac_f32_e32 v149, 0xbf4f1bbd, v160
	v_add_f32_e32 v179, v161, v153
	v_fmac_f32_e32 v152, 0x3f167918, v144
	v_fmac_f32_e32 v141, 0xbf167918, v144
	v_mul_f32_e32 v144, 0xbf167918, v166
	v_add_f32_e32 v164, v2, v149
	v_sub_f32_e32 v166, v0, v158
	v_fmac_f32_e32 v152, 0x3e9e377a, v145
	v_fmac_f32_e32 v141, 0x3e9e377a, v145
	v_sub_f32_e32 v158, v2, v149
	v_add_f32_e32 v2, v204, v208
	v_fmac_f32_e32 v144, 0x3f4f1bbd, v163
	v_mul_f32_e32 v145, 0xbf737871, v152
	v_mul_f32_e32 v148, 0xbf737871, v141
	v_mul_f32_e32 v141, 0xbe9e377a, v141
	v_mul_f32_e32 v152, 0x3e9e377a, v152
	v_fma_f32 v2, -0.5, v2, v136
	v_fmac_f32_e32 v145, 0x3e9e377a, v165
	v_fmac_f32_e32 v148, 0xbe9e377a, v140
	;; [unrolled: 1-line block ×3, first 2 shown]
	v_mul_f32_e32 v140, 0xbf4f1bbd, v162
	v_add_f32_e32 v178, v138, v144
	v_add_f32_e32 v168, v157, v145
	v_fmac_f32_e32 v152, 0x3f737871, v165
	v_add_f32_e32 v171, v159, v141
	v_fmac_f32_e32 v140, 0x3f167918, v160
	v_sub_f32_e32 v160, v138, v144
	v_sub_f32_e32 v162, v157, v145
	;; [unrolled: 1-line block ×3, first 2 shown]
	v_fmamk_f32 v138, v3, 0xbf737871, v2
	v_add_f32_e32 v165, v139, v140
	v_sub_f32_e32 v159, v139, v140
	v_sub_f32_e32 v139, v205, v209
	;; [unrolled: 1-line block ×4, first 2 shown]
	v_fmac_f32_e32 v2, 0x3f737871, v3
	v_add_f32_e32 v0, v136, v200
	v_fmac_f32_e32 v138, 0xbf167918, v139
	v_sub_f32_e32 v144, v208, v212
	v_add_f32_e32 v140, v140, v141
	v_fmac_f32_e32 v2, 0x3f167918, v139
	v_add_f32_e32 v170, v156, v148
	v_sub_f32_e32 v156, v156, v148
	v_sub_f32_e32 v145, v201, v205
	v_fmac_f32_e32 v138, 0x3e9e377a, v140
	v_fmac_f32_e32 v2, 0x3e9e377a, v140
	v_add_f32_e32 v140, v200, v212
	v_sub_f32_e32 v148, v213, v209
	v_add_f32_e32 v169, v202, v152
	v_sub_f32_e32 v161, v161, v153
	v_sub_f32_e32 v163, v202, v152
	v_fma_f32 v136, -0.5, v140, v136
	v_sub_f32_e32 v140, v204, v200
	v_add_f32_e32 v145, v145, v148
	v_sub_f32_e32 v148, v209, v213
	v_sub_f32_e32 v152, v146, v150
	v_fmamk_f32 v141, v139, 0x3f737871, v136
	v_fmac_f32_e32 v136, 0xbf737871, v139
	v_add_f32_e32 v140, v140, v144
	v_add_f32_e32 v139, v205, v209
	v_sub_f32_e32 v144, v204, v208
	v_fmac_f32_e32 v141, 0xbf167918, v3
	v_fmac_f32_e32 v136, 0x3f167918, v3
	v_add_f32_e32 v3, v137, v201
	v_fma_f32 v139, -0.5, v139, v137
	v_sub_f32_e32 v153, v198, v154
	v_fmac_f32_e32 v141, 0x3e9e377a, v140
	v_fmac_f32_e32 v136, 0x3e9e377a, v140
	v_sub_f32_e32 v140, v200, v212
	v_add_f32_e32 v0, v0, v204
	v_add_f32_e32 v152, v152, v153
	v_sub_f32_e32 v153, v154, v198
	v_add_f32_e32 v3, v3, v205
	v_fmamk_f32 v196, v140, 0x3f737871, v139
	v_fmac_f32_e32 v139, 0xbf737871, v140
	v_add_f32_e32 v0, v0, v208
	v_add_f32_e32 v3, v3, v209
	v_fmac_f32_e32 v196, 0x3f167918, v144
	v_fmac_f32_e32 v139, 0xbf167918, v144
	v_add_f32_e32 v0, v0, v212
	v_add_f32_e32 v3, v3, v213
	v_fmac_f32_e32 v196, 0x3e9e377a, v145
	v_fmac_f32_e32 v139, 0x3e9e377a, v145
	v_add_f32_e32 v145, v201, v213
	v_fmac_f32_e32 v137, -0.5, v145
	v_sub_f32_e32 v145, v205, v201
	v_fmamk_f32 v197, v144, 0xbf737871, v137
	v_fmac_f32_e32 v137, 0x3f737871, v144
	v_add_f32_e32 v145, v145, v148
	v_add_f32_e32 v144, v150, v154
	v_sub_f32_e32 v148, v151, v155
	v_fmac_f32_e32 v197, 0x3f167918, v140
	v_fmac_f32_e32 v137, 0xbf167918, v140
	v_add_f32_e32 v140, v142, v146
	v_fmac_f32_e32 v197, 0x3e9e377a, v145
	v_fmac_f32_e32 v137, 0x3e9e377a, v145
	v_fma_f32 v145, -0.5, v144, v142
	v_sub_f32_e32 v144, v147, v199
	v_add_f32_e32 v140, v140, v150
	v_fmamk_f32 v149, v144, 0xbf737871, v145
	v_fmac_f32_e32 v145, 0x3f737871, v144
	v_add_f32_e32 v140, v140, v154
	v_fmac_f32_e32 v149, 0xbf167918, v148
	v_fmac_f32_e32 v145, 0x3f167918, v148
	v_add_f32_e32 v140, v140, v198
	v_fmac_f32_e32 v149, 0x3e9e377a, v152
	v_fmac_f32_e32 v145, 0x3e9e377a, v152
	v_add_f32_e32 v152, v146, v198
	v_mul_f32_e32 v205, 0x3f167918, v149
	v_fma_f32 v142, -0.5, v152, v142
	v_sub_f32_e32 v152, v150, v146
	v_fmamk_f32 v200, v148, 0x3f737871, v142
	v_fmac_f32_e32 v142, 0xbf737871, v148
	v_add_f32_e32 v152, v152, v153
	v_sub_f32_e32 v148, v150, v154
	v_sub_f32_e32 v150, v147, v151
	v_fmac_f32_e32 v200, 0xbf167918, v144
	v_fmac_f32_e32 v142, 0x3f167918, v144
	v_add_f32_e32 v144, v143, v147
	v_fmac_f32_e32 v200, 0x3e9e377a, v152
	v_fmac_f32_e32 v142, 0x3e9e377a, v152
	v_add_f32_e32 v144, v144, v151
	v_sub_f32_e32 v152, v199, v155
	v_add_f32_e32 v144, v144, v155
	v_add_f32_e32 v150, v150, v152
	;; [unrolled: 1-line block ×6, first 2 shown]
	v_fma_f32 v202, -0.5, v144, v143
	v_sub_f32_e32 v144, v146, v198
	v_fmamk_f32 v146, v144, 0x3f737871, v202
	v_fmac_f32_e32 v202, 0xbf737871, v144
	v_fmac_f32_e32 v146, 0x3f167918, v148
	;; [unrolled: 1-line block ×5, first 2 shown]
	v_add_f32_e32 v150, v147, v199
	v_sub_f32_e32 v147, v151, v147
	v_fmac_f32_e32 v205, 0x3f4f1bbd, v146
	v_mul_f32_e32 v204, 0xbf167918, v202
	v_fmac_f32_e32 v143, -0.5, v150
	v_sub_f32_e32 v150, v155, v199
	v_mul_f32_e32 v202, 0xbf4f1bbd, v202
	v_add_f32_e32 v155, v196, v205
	v_fmac_f32_e32 v204, 0xbf4f1bbd, v145
	v_fmamk_f32 v198, v148, 0xbf737871, v143
	v_add_f32_e32 v147, v147, v150
	v_fmac_f32_e32 v143, 0x3f737871, v148
	v_fmac_f32_e32 v202, 0x3f167918, v145
	v_fmac_f32_e32 v198, 0x3f167918, v144
	v_fmac_f32_e32 v143, 0xbf167918, v144
	v_add_f32_e32 v144, v2, v204
	v_add_f32_e32 v145, v139, v202
	v_fmac_f32_e32 v198, 0x3e9e377a, v147
	v_sub_f32_e32 v139, v139, v202
	v_fmac_f32_e32 v143, 0x3e9e377a, v147
	v_mul_f32_e32 v147, 0xbf167918, v146
	v_sub_f32_e32 v146, v0, v140
	v_mul_f32_e32 v199, 0xbf737871, v198
	v_mul_f32_e32 v198, 0x3e9e377a, v198
	v_mul_f32_e32 v203, 0xbf737871, v143
	v_fmac_f32_e32 v147, 0x3f4f1bbd, v149
	v_mov_b32_e32 v202, v5
	v_fmac_f32_e32 v199, 0x3e9e377a, v200
	v_fmac_f32_e32 v198, 0x3f737871, v200
	v_mul_f32_e32 v200, 0xbe9e377a, v143
	v_fmac_f32_e32 v203, 0xbe9e377a, v142
	v_add_f32_e32 v154, v138, v147
	v_add_f32_e32 v148, v141, v199
	;; [unrolled: 1-line block ×3, first 2 shown]
	v_fmac_f32_e32 v200, 0x3f737871, v142
	v_add_f32_e32 v150, v136, v203
	v_sub_f32_e32 v140, v138, v147
	v_sub_f32_e32 v142, v141, v199
	v_sub_f32_e32 v136, v136, v203
	v_add_f32_e32 v151, v137, v200
	v_sub_f32_e32 v138, v2, v204
	v_sub_f32_e32 v147, v3, v201
	;; [unrolled: 1-line block ×5, first 2 shown]
	ds_write_b128 v109, v[192:195]
	ds_write_b128 v109, v[180:183] offset:16
	ds_write_b128 v109, v[172:175] offset:32
	ds_write_b128 v109, v[188:191] offset:48
	ds_write_b128 v109, v[184:187] offset:64
	ds_write_b128 v247, v[176:179]
	ds_write_b128 v247, v[168:171] offset:16
	ds_write_b128 v247, v[164:167] offset:32
	ds_write_b128 v247, v[160:163] offset:48
	ds_write_b128 v247, v[156:159] offset:64
	;; [unrolled: 5-line block ×3, first 2 shown]
	v_add_nc_u32_e32 v196, 0x400, v108
	v_add_nc_u32_e32 v195, 0x2400, v108
	s_waitcnt lgkmcnt(0)
	s_barrier
	buffer_gl0_inv
	ds_read2_b64 v[152:155], v108 offset1:100
	ds_read2_b64 v[0:3], v235 offset0:104 offset1:204
	ds_read2_b64 v[156:159], v246 offset0:80 offset1:180
	;; [unrolled: 1-line block ×12, first 2 shown]
	v_mov_b32_e32 v201, v6
	ds_read2_b64 v[184:187], v6 offset0:8 offset1:108
	ds_read2_b64 v[188:191], v245 offset0:112 offset1:212
	v_mov_b32_e32 v200, v7
	v_mov_b32_e32 v193, v4
	s_waitcnt lgkmcnt(0)
	s_barrier
	buffer_gl0_inv
	v_mul_f32_e32 v109, v221, v1
	v_mul_f32_e32 v5, v9, v161
	;; [unrolled: 1-line block ×5, first 2 shown]
	v_fmac_f32_e32 v109, v220, v0
	v_fmac_f32_e32 v5, v8, v160
	v_fma_f32 v6, v8, v161, -v6
	v_mul_f32_e32 v8, v11, v164
	v_fmac_f32_e32 v7, v10, v164
	v_fmac_f32_e32 v9, v12, v162
	v_mul_f32_e32 v11, v15, v167
	v_mul_f32_e32 v0, v221, v0
	v_fma_f32 v8, v10, v165, -v8
	v_mul_f32_e32 v10, v13, v162
	v_mul_f32_e32 v13, v17, v169
	v_fmac_f32_e32 v11, v14, v166
	v_mul_f32_e32 v192, v217, v3
	v_fma_f32 v0, v220, v1, -v0
	v_fma_f32 v10, v12, v163, -v10
	v_mul_f32_e32 v12, v15, v166
	v_fmac_f32_e32 v13, v16, v168
	v_mul_f32_e32 v15, v19, v173
	v_mul_f32_e32 v1, v223, v157
	v_fmac_f32_e32 v192, v216, v2
	v_fma_f32 v12, v14, v167, -v12
	v_mul_f32_e32 v14, v17, v168
	v_fmac_f32_e32 v15, v18, v172
	v_mul_f32_e32 v17, v21, v171
	v_mul_f32_e32 v2, v217, v2
	;; [unrolled: 1-line block ×3, first 2 shown]
	v_fma_f32 v14, v16, v169, -v14
	v_mul_f32_e32 v16, v19, v172
	v_fmac_f32_e32 v17, v20, v170
	v_mul_f32_e32 v19, v23, v175
	v_fmac_f32_e32 v1, v222, v156
	v_mul_f32_e32 v156, v223, v156
	v_fma_f32 v16, v18, v173, -v16
	v_mul_f32_e32 v18, v21, v170
	v_fma_f32 v2, v216, v3, -v2
	v_mul_f32_e32 v3, v219, v159
	v_mul_f32_e32 v168, v29, v179
	v_fma_f32 v156, v222, v157, -v156
	v_fma_f32 v18, v20, v171, -v18
	v_mul_f32_e32 v20, v23, v174
	v_fmac_f32_e32 v3, v218, v158
	v_mul_f32_e32 v4, v219, v158
	v_fmac_f32_e32 v164, v24, v176
	v_fmac_f32_e32 v19, v22, v174
	v_fma_f32 v23, v22, v175, -v20
	v_mul_f32_e32 v20, v25, v176
	v_fma_f32 v4, v218, v159, -v4
	v_mul_f32_e32 v176, v37, v187
	v_mul_f32_e32 v174, v35, v189
	v_fmac_f32_e32 v168, v28, v178
	v_fma_f32 v165, v24, v177, -v20
	v_mul_f32_e32 v20, v27, v180
	v_fmac_f32_e32 v176, v36, v186
	v_fmac_f32_e32 v174, v34, v188
	v_mul_f32_e32 v170, v31, v183
	v_mul_f32_e32 v172, v33, v185
	v_fma_f32 v167, v26, v181, -v20
	v_mul_f32_e32 v20, v29, v178
	v_mul_f32_e32 v178, v39, v191
	v_fmac_f32_e32 v170, v30, v182
	v_fmac_f32_e32 v172, v32, v184
	v_mul_f32_e32 v166, v27, v181
	v_fma_f32 v169, v28, v179, -v20
	v_mul_f32_e32 v20, v31, v182
	v_fmac_f32_e32 v178, v38, v190
	v_fmac_f32_e32 v166, v26, v180
	v_fma_f32 v171, v30, v183, -v20
	v_mul_f32_e32 v20, v33, v184
	v_fma_f32 v173, v32, v185, -v20
	v_mul_f32_e32 v20, v35, v188
	;; [unrolled: 2-line block ×4, first 2 shown]
	v_fma_f32 v179, v38, v191, -v20
	v_add_f32_e32 v20, v152, v109
	v_add_f32_e32 v158, v20, v1
	;; [unrolled: 1-line block ×3, first 2 shown]
	v_fma_f32 v152, -0.5, v20, v152
	v_sub_f32_e32 v20, v0, v156
	v_fmamk_f32 v162, v20, 0xbf5db3d7, v152
	v_fmac_f32_e32 v152, 0x3f5db3d7, v20
	v_add_f32_e32 v20, v153, v0
	v_add_f32_e32 v0, v0, v156
	;; [unrolled: 1-line block ×3, first 2 shown]
	v_fma_f32 v153, -0.5, v0, v153
	v_sub_f32_e32 v0, v109, v1
	v_add_f32_e32 v1, v176, v178
	v_sub_f32_e32 v109, v176, v178
	v_fmamk_f32 v163, v0, 0x3f5db3d7, v153
	v_fmac_f32_e32 v153, 0xbf5db3d7, v0
	v_add_f32_e32 v0, v154, v192
	v_add_f32_e32 v156, v0, v3
	;; [unrolled: 1-line block ×3, first 2 shown]
	v_fma_f32 v154, -0.5, v0, v154
	v_sub_f32_e32 v0, v2, v4
	v_fmamk_f32 v160, v0, 0xbf5db3d7, v154
	v_fmac_f32_e32 v154, 0x3f5db3d7, v0
	v_add_f32_e32 v0, v155, v2
	v_add_f32_e32 v157, v0, v4
	;; [unrolled: 1-line block ×3, first 2 shown]
	v_fmac_f32_e32 v155, -0.5, v0
	v_sub_f32_e32 v0, v192, v3
	v_add_f32_e32 v3, v177, v179
	v_fmamk_f32 v161, v0, 0x3f5db3d7, v155
	v_fmac_f32_e32 v155, 0xbf5db3d7, v0
	v_add_f32_e32 v0, v148, v5
	v_add_f32_e32 v36, v0, v7
	v_add_f32_e32 v0, v5, v7
	v_fma_f32 v34, -0.5, v0, v148
	v_sub_f32_e32 v0, v6, v8
	v_fmamk_f32 v38, v0, 0xbf5db3d7, v34
	v_fmac_f32_e32 v34, 0x3f5db3d7, v0
	v_add_f32_e32 v0, v149, v6
	v_add_f32_e32 v37, v0, v8
	v_add_f32_e32 v0, v6, v8
	v_fma_f32 v35, -0.5, v0, v149
	v_sub_f32_e32 v0, v5, v7
	v_fmamk_f32 v39, v0, 0x3f5db3d7, v35
	v_fmac_f32_e32 v35, 0xbf5db3d7, v0
	v_add_f32_e32 v0, v150, v9
	v_add_f32_e32 v30, v0, v11
	v_add_f32_e32 v0, v9, v11
	v_fma_f32 v150, -0.5, v0, v150
	v_sub_f32_e32 v0, v10, v12
	v_fmamk_f32 v32, v0, 0xbf5db3d7, v150
	v_fmac_f32_e32 v150, 0x3f5db3d7, v0
	v_add_f32_e32 v0, v151, v10
	v_add_f32_e32 v31, v0, v12
	v_add_f32_e32 v0, v10, v12
	v_fmac_f32_e32 v151, -0.5, v0
	v_sub_f32_e32 v0, v9, v11
	v_fmamk_f32 v33, v0, 0x3f5db3d7, v151
	v_fmac_f32_e32 v151, 0xbf5db3d7, v0
	v_add_f32_e32 v0, v144, v13
	v_add_f32_e32 v26, v0, v15
	v_add_f32_e32 v0, v13, v15
	v_fma_f32 v24, -0.5, v0, v144
	v_sub_f32_e32 v0, v14, v16
	v_fmamk_f32 v28, v0, 0xbf5db3d7, v24
	v_fmac_f32_e32 v24, 0x3f5db3d7, v0
	v_add_f32_e32 v0, v145, v14
	v_add_f32_e32 v27, v0, v16
	v_add_f32_e32 v0, v14, v16
	v_fma_f32 v25, -0.5, v0, v145
	v_sub_f32_e32 v0, v13, v15
	v_fmamk_f32 v29, v0, 0x3f5db3d7, v25
	v_fmac_f32_e32 v25, 0xbf5db3d7, v0
	v_add_f32_e32 v0, v146, v17
	v_add_f32_e32 v20, v0, v19
	v_add_f32_e32 v0, v17, v19
	v_fma_f32 v146, -0.5, v0, v146
	v_sub_f32_e32 v0, v18, v23
	v_fmamk_f32 v22, v0, 0xbf5db3d7, v146
	v_fmac_f32_e32 v146, 0x3f5db3d7, v0
	v_add_f32_e32 v0, v147, v18
	v_add_f32_e32 v21, v0, v23
	v_add_f32_e32 v0, v18, v23
	v_fmac_f32_e32 v147, -0.5, v0
	v_sub_f32_e32 v0, v17, v19
	;; [unrolled: 28-line block ×3, first 2 shown]
	v_fmamk_f32 v13, v0, 0x3f5db3d7, v143
	v_fmac_f32_e32 v143, 0xbf5db3d7, v0
	v_add_f32_e32 v0, v136, v172
	v_add_f32_e32 v6, v0, v174
	;; [unrolled: 1-line block ×3, first 2 shown]
	v_fma_f32 v4, -0.5, v0, v136
	v_sub_f32_e32 v0, v173, v175
	v_fmamk_f32 v8, v0, 0xbf5db3d7, v4
	v_fmac_f32_e32 v4, 0x3f5db3d7, v0
	v_add_f32_e32 v0, v137, v173
	v_add_f32_e32 v7, v0, v175
	;; [unrolled: 1-line block ×3, first 2 shown]
	v_fma_f32 v5, -0.5, v0, v137
	v_sub_f32_e32 v0, v172, v174
	v_fmamk_f32 v9, v0, 0x3f5db3d7, v5
	v_fmac_f32_e32 v5, 0xbf5db3d7, v0
	v_add_f32_e32 v0, v138, v176
	v_fma_f32 v138, -0.5, v1, v138
	v_sub_f32_e32 v1, v177, v179
	v_add_f32_e32 v0, v0, v178
	v_fmamk_f32 v2, v1, 0xbf5db3d7, v138
	v_fmac_f32_e32 v138, 0x3f5db3d7, v1
	v_add_f32_e32 v1, v139, v177
	v_fmac_f32_e32 v139, -0.5, v3
	v_add_f32_e32 v1, v1, v179
	v_fmamk_f32 v3, v109, 0x3f5db3d7, v139
	v_fmac_f32_e32 v139, 0xbf5db3d7, v109
	buffer_load_dword v109, off, s[20:23], 0 offset:260 ; 4-byte Folded Reload
	s_waitcnt vmcnt(0)
	ds_write2_b64 v109, v[158:159], v[162:163] offset1:10
	ds_write_b64 v109, v[152:153] offset:160
	buffer_load_dword v109, off, s[20:23], 0 offset:228 ; 4-byte Folded Reload
	s_waitcnt vmcnt(0)
	ds_write2_b64 v109, v[156:157], v[160:161] offset1:10
	ds_write_b64 v109, v[154:155] offset:160
	;; [unrolled: 4-line block ×10, first 2 shown]
	s_waitcnt lgkmcnt(0)
	s_barrier
	buffer_gl0_inv
	ds_read2_b64 v[4:7], v108 offset1:100
	ds_read2_b64 v[0:3], v196 offset0:72 offset1:172
	ds_read2_b64 v[8:11], v238 offset0:88 offset1:188
	;; [unrolled: 1-line block ×14, first 2 shown]
	s_waitcnt lgkmcnt(0)
	s_barrier
	buffer_gl0_inv
	v_mul_f32_e32 v19, v69, v3
	v_mul_f32_e32 v16, v135, v11
	;; [unrolled: 1-line block ×5, first 2 shown]
	v_fmac_f32_e32 v19, v68, v2
	v_mul_f32_e32 v2, v69, v2
	v_fmac_f32_e32 v30, v64, v138
	v_fmac_f32_e32 v18, v130, v24
	v_mul_f32_e32 v20, v119, v150
	v_fmac_f32_e32 v31, v56, v142
	v_fma_f32 v21, v68, v3, -v2
	v_mul_f32_e32 v2, v71, v8
	v_mul_f32_e32 v68, v71, v9
	v_mul_f32_e32 v13, v117, v169
	v_fma_f32 v20, v118, v151, -v20
	v_mul_f32_e32 v12, v121, v165
	v_fma_f32 v37, v70, v9, -v2
	v_mul_f32_e32 v2, v65, v138
	v_fmac_f32_e32 v68, v70, v8
	v_mul_f32_e32 v8, v135, v10
	v_mul_f32_e32 v9, v131, v24
	;; [unrolled: 1-line block ×3, first 2 shown]
	v_fma_f32 v26, v64, v139, -v2
	v_mul_f32_e32 v64, v67, v23
	v_mul_f32_e32 v2, v67, v22
	v_fma_f32 v14, v134, v11, -v8
	v_fma_f32 v15, v130, v25, -v9
	v_mul_f32_e32 v11, v123, v34
	v_fmac_f32_e32 v64, v66, v22
	v_mul_f32_e32 v22, v123, v35
	v_mul_f32_e32 v25, v111, v173
	v_fma_f32 v24, v110, v173, -v24
	v_fma_f32 v17, v122, v35, -v11
	v_mul_f32_e32 v11, v117, v168
	v_fmac_f32_e32 v22, v122, v34
	v_mul_f32_e32 v34, v125, v158
	v_fmac_f32_e32 v25, v110, v172
	v_fma_f32 v38, v66, v23, -v2
	v_mul_f32_e32 v23, v119, v151
	v_fmac_f32_e32 v13, v116, v168
	v_fma_f32 v110, v124, v159, -v34
	v_mul_f32_e32 v34, v127, v136
	v_fma_f32 v11, v116, v169, -v11
	v_fmac_f32_e32 v23, v118, v150
	v_mul_f32_e32 v116, v113, v163
	v_mul_f32_e32 v9, v121, v164
	v_fma_f32 v117, v126, v137, -v34
	v_mul_f32_e32 v34, v113, v162
	v_fmac_f32_e32 v12, v120, v164
	v_fmac_f32_e32 v116, v112, v162
	v_fma_f32 v9, v120, v165, -v9
	v_mul_f32_e32 v2, v57, v142
	v_fma_f32 v111, v112, v163, -v34
	v_mul_f32_e32 v34, v115, v140
	v_mul_f32_e32 v109, v125, v159
	;; [unrolled: 1-line block ×3, first 2 shown]
	v_fma_f32 v27, v56, v143, -v2
	v_mul_f32_e32 v56, v59, v33
	v_fma_f32 v118, v114, v141, -v34
	v_mul_f32_e32 v34, v249, v166
	v_mul_f32_e32 v2, v59, v32
	v_fmac_f32_e32 v109, v124, v158
	v_fmac_f32_e32 v56, v58, v32
	v_mul_f32_e32 v32, v49, v147
	v_fma_f32 v112, v248, v167, -v34
	v_mul_f32_e32 v34, v251, v144
	v_fma_f32 v39, v58, v33, -v2
	v_mul_f32_e32 v2, v49, v146
	v_mul_f32_e32 v49, v51, v149
	v_fmac_f32_e32 v32, v48, v146
	v_fma_f32 v120, v250, v145, -v34
	v_mul_f32_e32 v34, v105, v170
	v_fma_f32 v28, v48, v147, -v2
	v_fmac_f32_e32 v49, v50, v148
	v_mul_f32_e32 v2, v51, v148
	v_sub_f32_e32 v57, v38, v39
	v_fma_f32 v113, v104, v171, -v34
	v_mul_f32_e32 v34, v107, v152
	v_sub_f32_e32 v58, v49, v56
	v_fma_f32 v48, v50, v149, -v2
	v_sub_f32_e32 v50, v68, v64
	v_sub_f32_e32 v59, v56, v49
	v_fma_f32 v122, v106, v153, -v34
	v_mul_f32_e32 v34, v233, v174
	v_sub_f32_e32 v51, v37, v48
	v_add_f32_e32 v50, v50, v58
	v_sub_f32_e32 v58, v64, v68
	v_mul_f32_e32 v2, v229, v154
	v_fma_f32 v125, v232, v175, -v34
	v_add_f32_e32 v34, v4, v68
	v_mul_f32_e32 v33, v229, v155
	v_add_f32_e32 v58, v58, v59
	v_sub_f32_e32 v59, v37, v38
	v_fma_f32 v29, v228, v155, -v2
	v_add_f32_e32 v34, v34, v64
	v_fmac_f32_e32 v33, v228, v154
	v_mul_f32_e32 v115, v105, v171
	v_mul_f32_e32 v124, v107, v153
	v_fmac_f32_e32 v16, v134, v10
	v_add_f32_e32 v34, v34, v56
	v_sub_f32_e32 v65, v32, v33
	v_mul_f32_e32 v119, v127, v137
	v_fmac_f32_e32 v124, v106, v152
	v_mul_f32_e32 v2, v133, v157
	v_add_f32_e32 v35, v34, v49
	v_add_f32_e32 v34, v64, v56
	v_sub_f32_e32 v56, v64, v56
	v_sub_f32_e32 v64, v48, v39
	v_mul_f32_e32 v8, v129, v160
	v_fmac_f32_e32 v2, v132, v156
	v_fma_f32 v34, -0.5, v34, v4
	v_mul_f32_e32 v10, v129, v161
	v_add_f32_e32 v59, v59, v64
	v_sub_f32_e32 v64, v33, v32
	v_fma_f32 v8, v128, v161, -v8
	v_fmamk_f32 v36, v51, 0xbf737871, v34
	v_fmac_f32_e32 v34, 0x3f737871, v51
	v_fmac_f32_e32 v10, v128, v160
	v_mul_f32_e32 v3, v133, v156
	v_mul_f32_e32 v123, v251, v145
	v_fmac_f32_e32 v36, 0xbf167918, v57
	v_fmac_f32_e32 v34, 0x3f167918, v57
	;; [unrolled: 1-line block ×3, first 2 shown]
	v_fma_f32 v3, v132, v157, -v3
	v_fmac_f32_e32 v123, v250, v144
	v_fmac_f32_e32 v36, 0x3e9e377a, v50
	;; [unrolled: 1-line block ×3, first 2 shown]
	v_add_f32_e32 v50, v68, v49
	v_fmac_f32_e32 v115, v104, v170
	v_fmac_f32_e32 v119, v126, v136
	v_mul_f32_e32 v114, v249, v167
	v_mul_f32_e32 v126, v233, v175
	v_fma_f32 v4, -0.5, v50, v4
	v_fmac_f32_e32 v114, v248, v166
	v_fmac_f32_e32 v126, v232, v174
	v_fmamk_f32 v50, v57, 0x3f737871, v4
	v_fmac_f32_e32 v4, 0xbf737871, v57
	v_fmac_f32_e32 v50, 0xbf167918, v51
	;; [unrolled: 1-line block ×3, first 2 shown]
	v_add_f32_e32 v51, v5, v37
	v_fmac_f32_e32 v50, 0x3e9e377a, v58
	v_fmac_f32_e32 v4, 0x3e9e377a, v58
	v_add_f32_e32 v51, v51, v38
	v_sub_f32_e32 v58, v68, v49
	v_add_f32_e32 v51, v51, v39
	v_add_f32_e32 v57, v51, v48
	;; [unrolled: 1-line block ×3, first 2 shown]
	v_fma_f32 v51, -0.5, v51, v5
	v_fmamk_f32 v49, v58, 0x3f737871, v51
	v_fmac_f32_e32 v51, 0xbf737871, v58
	v_fmac_f32_e32 v49, 0x3f167918, v56
	;; [unrolled: 1-line block ×5, first 2 shown]
	v_add_f32_e32 v59, v37, v48
	v_sub_f32_e32 v37, v38, v37
	v_sub_f32_e32 v38, v39, v48
	;; [unrolled: 1-line block ×3, first 2 shown]
	v_fma_f32 v5, -0.5, v59, v5
	v_add_f32_e32 v37, v37, v38
	v_add_f32_e32 v38, v31, v32
	v_fmamk_f32 v59, v56, 0xbf737871, v5
	v_fmac_f32_e32 v5, 0x3f737871, v56
	v_sub_f32_e32 v56, v27, v28
	v_fma_f32 v38, -0.5, v38, v19
	v_fmac_f32_e32 v59, 0x3f167918, v58
	v_fmac_f32_e32 v5, 0xbf167918, v58
	v_sub_f32_e32 v58, v30, v31
	v_fmamk_f32 v48, v39, 0xbf737871, v38
	v_fmac_f32_e32 v38, 0x3f737871, v39
	v_fmac_f32_e32 v59, 0x3e9e377a, v37
	;; [unrolled: 1-line block ×3, first 2 shown]
	v_add_f32_e32 v58, v58, v64
	v_fmac_f32_e32 v48, 0xbf167918, v56
	v_fmac_f32_e32 v38, 0x3f167918, v56
	v_add_f32_e32 v37, v19, v30
	v_sub_f32_e32 v64, v31, v30
	v_fmac_f32_e32 v48, 0x3e9e377a, v58
	v_fmac_f32_e32 v38, 0x3e9e377a, v58
	v_add_f32_e32 v58, v30, v33
	v_add_f32_e32 v37, v37, v31
	v_add_f32_e32 v64, v64, v65
	v_sub_f32_e32 v30, v30, v33
	v_sub_f32_e32 v31, v31, v32
	v_fmac_f32_e32 v19, -0.5, v58
	v_add_f32_e32 v37, v37, v32
	v_sub_f32_e32 v32, v26, v27
	v_fmamk_f32 v58, v56, 0x3f737871, v19
	v_fmac_f32_e32 v19, 0xbf737871, v56
	v_add_f32_e32 v56, v27, v28
	v_add_f32_e32 v37, v37, v33
	v_fmac_f32_e32 v58, 0xbf167918, v39
	v_fmac_f32_e32 v19, 0x3f167918, v39
	v_fma_f32 v56, -0.5, v56, v21
	v_add_f32_e32 v39, v21, v26
	v_add_f32_e32 v104, v35, v37
	v_fmac_f32_e32 v58, 0x3e9e377a, v64
	v_fmac_f32_e32 v19, 0x3e9e377a, v64
	v_fmamk_f32 v33, v30, 0x3f737871, v56
	v_sub_f32_e32 v64, v29, v28
	v_fmac_f32_e32 v56, 0xbf737871, v30
	v_add_f32_e32 v39, v39, v27
	v_sub_f32_e32 v70, v35, v37
	v_fmac_f32_e32 v33, 0x3f167918, v31
	v_add_f32_e32 v32, v32, v64
	v_fmac_f32_e32 v56, 0xbf167918, v31
	v_add_f32_e32 v39, v39, v28
	v_fmac_f32_e32 v33, 0x3e9e377a, v32
	v_fmac_f32_e32 v56, 0x3e9e377a, v32
	v_add_f32_e32 v32, v26, v29
	v_sub_f32_e32 v26, v27, v26
	v_sub_f32_e32 v27, v28, v29
	v_add_f32_e32 v39, v39, v29
	v_mul_f32_e32 v29, 0xbf167918, v56
	v_fmac_f32_e32 v21, -0.5, v32
	v_add_f32_e32 v26, v26, v27
	v_add_f32_e32 v105, v57, v39
	v_sub_f32_e32 v71, v57, v39
	v_fmamk_f32 v32, v31, 0xbf737871, v21
	v_fmac_f32_e32 v21, 0x3f737871, v31
	v_fmac_f32_e32 v29, 0xbf4f1bbd, v38
	;; [unrolled: 1-line block ×4, first 2 shown]
	v_mul_f32_e32 v30, 0x3f4f1bbd, v33
	v_add_f32_e32 v64, v34, v29
	v_fmac_f32_e32 v32, 0x3e9e377a, v26
	v_fmac_f32_e32 v21, 0x3e9e377a, v26
	;; [unrolled: 1-line block ×3, first 2 shown]
	v_mul_f32_e32 v26, 0xbf167918, v33
	v_mul_f32_e32 v27, 0xbf737871, v32
	;; [unrolled: 1-line block ×4, first 2 shown]
	v_add_f32_e32 v107, v49, v30
	v_sub_f32_e32 v57, v49, v30
	v_fmac_f32_e32 v26, 0x3f4f1bbd, v48
	v_fmac_f32_e32 v28, 0xbe9e377a, v19
	;; [unrolled: 1-line block ×3, first 2 shown]
	v_mul_f32_e32 v19, 0xbf4f1bbd, v56
	v_fmac_f32_e32 v27, 0x3e9e377a, v58
	v_mul_f32_e32 v31, 0x3e9e377a, v32
	v_add_f32_e32 v106, v36, v26
	v_add_f32_e32 v69, v5, v21
	v_fmac_f32_e32 v19, 0x3f167918, v38
	v_sub_f32_e32 v49, v5, v21
	v_add_f32_e32 v5, v18, v22
	v_add_f32_e32 v66, v50, v27
	v_add_f32_e32 v68, v4, v28
	v_add_f32_e32 v65, v51, v19
	v_sub_f32_e32 v51, v51, v19
	v_fma_f32 v5, -0.5, v5, v6
	v_sub_f32_e32 v19, v14, v20
	v_fmac_f32_e32 v31, 0x3f737871, v58
	v_sub_f32_e32 v56, v36, v26
	v_sub_f32_e32 v58, v50, v27
	;; [unrolled: 1-line block ×3, first 2 shown]
	v_fmamk_f32 v21, v19, 0xbf737871, v5
	v_sub_f32_e32 v26, v15, v17
	v_sub_f32_e32 v27, v16, v18
	;; [unrolled: 1-line block ×3, first 2 shown]
	v_fmac_f32_e32 v5, 0x3f737871, v19
	v_add_f32_e32 v4, v6, v16
	v_fmac_f32_e32 v21, 0xbf167918, v26
	v_sub_f32_e32 v50, v34, v29
	v_add_f32_e32 v27, v27, v28
	v_fmac_f32_e32 v5, 0x3f167918, v26
	v_add_f32_e32 v4, v4, v18
	v_sub_f32_e32 v28, v18, v16
	v_sub_f32_e32 v29, v22, v23
	v_fmac_f32_e32 v21, 0x3e9e377a, v27
	v_fmac_f32_e32 v5, 0x3e9e377a, v27
	v_add_f32_e32 v27, v16, v23
	v_add_f32_e32 v4, v4, v22
	v_sub_f32_e32 v16, v16, v23
	v_sub_f32_e32 v18, v18, v22
	;; [unrolled: 1-line block ×3, first 2 shown]
	v_fma_f32 v6, -0.5, v27, v6
	v_add_f32_e32 v4, v4, v23
	v_add_f32_e32 v28, v28, v29
	;; [unrolled: 1-line block ×3, first 2 shown]
	v_sub_f32_e32 v59, v59, v31
	v_fmamk_f32 v27, v26, 0x3f737871, v6
	v_fmac_f32_e32 v6, 0xbf737871, v26
	v_add_f32_e32 v26, v15, v17
	v_fmac_f32_e32 v27, 0xbf167918, v19
	v_fmac_f32_e32 v6, 0x3f167918, v19
	v_fma_f32 v127, -0.5, v26, v7
	v_sub_f32_e32 v26, v20, v17
	v_add_f32_e32 v19, v7, v14
	v_fmac_f32_e32 v27, 0x3e9e377a, v28
	v_fmac_f32_e32 v6, 0x3e9e377a, v28
	v_fmamk_f32 v23, v16, 0x3f737871, v127
	v_fmac_f32_e32 v127, 0xbf737871, v16
	v_add_f32_e32 v22, v22, v26
	v_add_f32_e32 v19, v19, v15
	v_sub_f32_e32 v26, v13, v25
	v_fmac_f32_e32 v23, 0x3f167918, v18
	v_fmac_f32_e32 v127, 0xbf167918, v18
	v_add_f32_e32 v19, v19, v17
	v_fmac_f32_e32 v23, 0x3e9e377a, v22
	v_fmac_f32_e32 v127, 0x3e9e377a, v22
	v_add_f32_e32 v22, v14, v20
	v_sub_f32_e32 v14, v15, v14
	v_sub_f32_e32 v15, v17, v20
	v_add_f32_e32 v19, v19, v20
	v_sub_f32_e32 v20, v10, v12
	v_fmac_f32_e32 v7, -0.5, v22
	v_sub_f32_e32 v22, v25, v13
	v_add_f32_e32 v14, v14, v15
	v_add_f32_e32 v15, v12, v13
	v_fmamk_f32 v29, v18, 0xbf737871, v7
	v_fmac_f32_e32 v7, 0x3f737871, v18
	v_sub_f32_e32 v18, v9, v11
	v_fma_f32 v15, -0.5, v15, v2
	v_add_f32_e32 v20, v20, v22
	v_fmac_f32_e32 v29, 0x3f167918, v16
	v_fmac_f32_e32 v7, 0xbf167918, v16
	v_sub_f32_e32 v16, v8, v24
	v_sub_f32_e32 v22, v12, v10
	v_fmac_f32_e32 v29, 0x3e9e377a, v14
	v_fmac_f32_e32 v7, 0x3e9e377a, v14
	v_fmamk_f32 v17, v16, 0xbf737871, v15
	v_fmac_f32_e32 v15, 0x3f737871, v16
	v_add_f32_e32 v14, v2, v10
	v_add_f32_e32 v22, v22, v26
	v_fmac_f32_e32 v17, 0xbf167918, v18
	v_fmac_f32_e32 v15, 0x3f167918, v18
	v_add_f32_e32 v14, v14, v12
	v_sub_f32_e32 v12, v12, v13
	v_fmac_f32_e32 v17, 0x3e9e377a, v20
	v_fmac_f32_e32 v15, 0x3e9e377a, v20
	v_add_f32_e32 v20, v10, v25
	v_add_f32_e32 v14, v14, v13
	v_sub_f32_e32 v10, v10, v25
	v_sub_f32_e32 v13, v8, v9
	v_fmac_f32_e32 v2, -0.5, v20
	v_add_f32_e32 v14, v14, v25
	v_sub_f32_e32 v25, v24, v11
	v_fmamk_f32 v20, v18, 0x3f737871, v2
	v_fmac_f32_e32 v2, 0xbf737871, v18
	v_add_f32_e32 v18, v9, v11
	v_add_f32_e32 v13, v13, v25
	;; [unrolled: 1-line block ×3, first 2 shown]
	v_fmac_f32_e32 v20, 0xbf167918, v16
	v_fmac_f32_e32 v2, 0x3f167918, v16
	v_fma_f32 v18, -0.5, v18, v3
	v_add_f32_e32 v16, v3, v8
	v_sub_f32_e32 v30, v4, v14
	v_fmac_f32_e32 v20, 0x3e9e377a, v22
	v_fmac_f32_e32 v2, 0x3e9e377a, v22
	v_fmamk_f32 v22, v10, 0x3f737871, v18
	v_fmac_f32_e32 v18, 0xbf737871, v10
	v_add_f32_e32 v16, v16, v9
	v_sub_f32_e32 v4, v117, v122
	v_sub_f32_e32 v14, v115, v126
	v_fmac_f32_e32 v22, 0x3f167918, v12
	v_fmac_f32_e32 v18, 0xbf167918, v12
	v_add_f32_e32 v16, v16, v11
	v_fmac_f32_e32 v22, 0x3e9e377a, v13
	v_fmac_f32_e32 v18, 0x3e9e377a, v13
	v_add_f32_e32 v13, v8, v24
	v_sub_f32_e32 v8, v9, v8
	v_sub_f32_e32 v9, v11, v24
	v_add_f32_e32 v16, v16, v24
	v_mul_f32_e32 v11, 0xbf167918, v18
	v_fmac_f32_e32 v3, -0.5, v13
	v_add_f32_e32 v8, v8, v9
	v_add_f32_e32 v37, v19, v16
	v_fmac_f32_e32 v11, 0xbf4f1bbd, v15
	v_fmamk_f32 v13, v12, 0xbf737871, v3
	v_fmac_f32_e32 v3, 0x3f737871, v12
	v_mul_f32_e32 v12, 0x3f4f1bbd, v22
	v_sub_f32_e32 v31, v19, v16
	v_add_f32_e32 v24, v5, v11
	v_fmac_f32_e32 v13, 0x3f167918, v10
	v_fmac_f32_e32 v3, 0xbf167918, v10
	;; [unrolled: 1-line block ×3, first 2 shown]
	v_sub_f32_e32 v16, v125, v113
	v_fmac_f32_e32 v13, 0x3e9e377a, v8
	v_fmac_f32_e32 v3, 0x3e9e377a, v8
	v_mul_f32_e32 v8, 0xbf167918, v22
	v_sub_f32_e32 v22, v5, v11
	v_sub_f32_e32 v5, v118, v120
	v_mul_f32_e32 v9, 0xbf737871, v13
	v_mul_f32_e32 v10, 0xbf737871, v3
	;; [unrolled: 1-line block ×3, first 2 shown]
	v_fmac_f32_e32 v8, 0x3f4f1bbd, v17
	v_mul_f32_e32 v13, 0x3e9e377a, v13
	v_fmac_f32_e32 v9, 0x3e9e377a, v20
	v_fmac_f32_e32 v10, 0xbe9e377a, v2
	;; [unrolled: 1-line block ×3, first 2 shown]
	v_add_f32_e32 v38, v21, v8
	v_sub_f32_e32 v26, v21, v8
	v_fmac_f32_e32 v13, 0x3f737871, v20
	v_add_f32_e32 v34, v6, v10
	v_add_f32_e32 v35, v7, v3
	v_sub_f32_e32 v21, v7, v3
	v_add_f32_e32 v3, v121, v123
	v_sub_f32_e32 v20, v6, v10
	v_sub_f32_e32 v7, v119, v121
	;; [unrolled: 1-line block ×3, first 2 shown]
	v_mul_f32_e32 v2, 0xbf4f1bbd, v18
	v_fma_f32 v3, -0.5, v3, v0
	v_add_f32_e32 v32, v27, v9
	v_add_f32_e32 v39, v23, v12
	;; [unrolled: 1-line block ×3, first 2 shown]
	v_fmac_f32_e32 v2, 0x3f167918, v15
	v_fmamk_f32 v6, v4, 0xbf737871, v3
	v_fmac_f32_e32 v3, 0x3f737871, v4
	v_sub_f32_e32 v28, v27, v9
	v_sub_f32_e32 v27, v23, v12
	v_add_f32_e32 v25, v127, v2
	v_fmac_f32_e32 v6, 0xbf167918, v5
	v_fmac_f32_e32 v3, 0x3f167918, v5
	v_sub_f32_e32 v23, v127, v2
	v_add_f32_e32 v2, v0, v119
	v_sub_f32_e32 v8, v121, v119
	v_fmac_f32_e32 v6, 0x3e9e377a, v7
	v_fmac_f32_e32 v3, 0x3e9e377a, v7
	v_add_f32_e32 v7, v119, v124
	v_sub_f32_e32 v9, v123, v124
	v_sub_f32_e32 v10, v122, v120
	v_add_f32_e32 v2, v2, v121
	v_add_f32_e32 v33, v29, v13
	v_fma_f32 v0, -0.5, v7, v0
	v_add_f32_e32 v8, v8, v9
	v_sub_f32_e32 v29, v29, v13
	v_sub_f32_e32 v11, v112, v113
	;; [unrolled: 1-line block ×3, first 2 shown]
	v_fmamk_f32 v7, v5, 0x3f737871, v0
	v_fmac_f32_e32 v0, 0xbf737871, v5
	v_sub_f32_e32 v5, v121, v123
	v_sub_f32_e32 v13, v126, v115
	v_add_f32_e32 v2, v2, v123
	v_fmac_f32_e32 v7, 0xbf167918, v4
	v_fmac_f32_e32 v0, 0x3f167918, v4
	v_add_f32_e32 v4, v1, v117
	v_add_f32_e32 v12, v12, v13
	;; [unrolled: 1-line block ×3, first 2 shown]
	v_fmac_f32_e32 v7, 0x3e9e377a, v8
	v_fmac_f32_e32 v0, 0x3e9e377a, v8
	v_add_f32_e32 v4, v4, v118
	v_sub_f32_e32 v8, v117, v118
	v_add_f32_e32 v4, v4, v120
	v_add_f32_e32 v8, v8, v10
	v_sub_f32_e32 v10, v120, v122
	v_add_f32_e32 v9, v4, v122
	v_add_f32_e32 v4, v118, v120
	v_fma_f32 v127, -0.5, v4, v1
	v_sub_f32_e32 v4, v119, v124
	v_fmamk_f32 v119, v4, 0x3f737871, v127
	v_fmac_f32_e32 v127, 0xbf737871, v4
	v_fmac_f32_e32 v119, 0x3f167918, v5
	;; [unrolled: 1-line block ×5, first 2 shown]
	v_add_f32_e32 v8, v117, v122
	v_fmac_f32_e32 v1, -0.5, v8
	v_sub_f32_e32 v8, v118, v117
	v_fmamk_f32 v121, v5, 0xbf737871, v1
	v_fmac_f32_e32 v1, 0x3f737871, v5
	v_add_f32_e32 v8, v8, v10
	v_fmac_f32_e32 v121, 0x3f167918, v4
	v_fmac_f32_e32 v1, 0xbf167918, v4
	v_add_f32_e32 v4, v109, v116
	v_fmac_f32_e32 v121, 0x3e9e377a, v8
	v_fmac_f32_e32 v1, 0x3e9e377a, v8
	v_add_f32_e32 v4, v4, v114
	v_add_f32_e32 v4, v4, v115
	;; [unrolled: 1-line block ×4, first 2 shown]
	v_fma_f32 v5, -0.5, v4, v109
	v_sub_f32_e32 v4, v111, v125
	v_fmamk_f32 v10, v4, 0xbf737871, v5
	v_fmac_f32_e32 v5, 0x3f737871, v4
	v_fmac_f32_e32 v10, 0xbf167918, v11
	;; [unrolled: 1-line block ×5, first 2 shown]
	v_add_f32_e32 v12, v116, v126
	v_fmac_f32_e32 v109, -0.5, v12
	v_sub_f32_e32 v12, v114, v116
	v_fmamk_f32 v13, v11, 0x3f737871, v109
	v_fmac_f32_e32 v109, 0xbf737871, v11
	v_add_f32_e32 v12, v12, v14
	v_sub_f32_e32 v14, v111, v112
	v_fmac_f32_e32 v13, 0xbf167918, v4
	v_fmac_f32_e32 v109, 0x3f167918, v4
	v_add_f32_e32 v4, v110, v111
	v_add_f32_e32 v14, v14, v16
	v_sub_f32_e32 v16, v113, v125
	v_fmac_f32_e32 v13, 0x3e9e377a, v12
	v_fmac_f32_e32 v109, 0x3e9e377a, v12
	v_add_f32_e32 v4, v4, v112
	v_sub_f32_e32 v12, v114, v115
	v_add_f32_e32 v4, v4, v113
	v_add_f32_e32 v11, v4, v125
	;; [unrolled: 1-line block ×4, first 2 shown]
	v_fma_f32 v117, -0.5, v4, v110
	v_sub_f32_e32 v4, v116, v126
	v_sub_f32_e32 v11, v9, v11
	v_fmamk_f32 v15, v4, 0x3f737871, v117
	v_fmac_f32_e32 v117, 0xbf737871, v4
	v_fmac_f32_e32 v15, 0x3f167918, v12
	;; [unrolled: 1-line block ×5, first 2 shown]
	v_add_f32_e32 v14, v111, v125
	v_mul_f32_e32 v116, 0x3f4f1bbd, v15
	v_mul_f32_e32 v115, 0xbf167918, v117
	v_fmac_f32_e32 v110, -0.5, v14
	v_sub_f32_e32 v14, v112, v111
	v_mul_f32_e32 v111, 0xbf167918, v15
	v_fmac_f32_e32 v116, 0x3f167918, v10
	v_fmac_f32_e32 v115, 0xbf4f1bbd, v5
	v_fmamk_f32 v114, v12, 0xbf737871, v110
	v_fmac_f32_e32 v110, 0x3f737871, v12
	v_add_f32_e32 v14, v14, v16
	v_add_f32_e32 v16, v2, v8
	v_fmac_f32_e32 v111, 0x3f4f1bbd, v10
	v_fmac_f32_e32 v114, 0x3f167918, v4
	;; [unrolled: 1-line block ×3, first 2 shown]
	v_add_f32_e32 v4, v3, v115
	v_sub_f32_e32 v10, v2, v8
	v_sub_f32_e32 v2, v3, v115
	v_fmac_f32_e32 v114, 0x3e9e377a, v14
	v_fmac_f32_e32 v110, 0x3e9e377a, v14
	v_add_f32_e32 v18, v6, v111
	v_add_f32_e32 v19, v119, v116
	v_sub_f32_e32 v6, v6, v111
	v_mul_f32_e32 v112, 0xbf737871, v114
	v_mul_f32_e32 v113, 0xbf737871, v110
	;; [unrolled: 1-line block ×4, first 2 shown]
	v_fmac_f32_e32 v112, 0x3e9e377a, v13
	v_fmac_f32_e32 v113, 0xbe9e377a, v109
	;; [unrolled: 1-line block ×3, first 2 shown]
	v_mul_f32_e32 v109, 0xbf4f1bbd, v117
	v_fmac_f32_e32 v114, 0x3f737871, v13
	v_add_f32_e32 v12, v7, v112
	v_add_f32_e32 v14, v0, v113
	;; [unrolled: 1-line block ×3, first 2 shown]
	v_fmac_f32_e32 v109, 0x3f167918, v5
	v_add_f32_e32 v13, v121, v114
	v_sub_f32_e32 v8, v7, v112
	v_sub_f32_e32 v7, v119, v116
	;; [unrolled: 1-line block ×3, first 2 shown]
	v_add_f32_e32 v5, v127, v109
	v_sub_f32_e32 v3, v127, v109
	buffer_load_dword v109, off, s[20:23], 0 offset:264 ; 4-byte Folded Reload
	s_waitcnt vmcnt(0)
	ds_write2_b64 v109, v[104:105], v[106:107] offset1:30
	ds_write2_b64 v109, v[66:67], v[68:69] offset0:60 offset1:90
	ds_write2_b64 v109, v[64:65], v[70:71] offset0:120 offset1:150
	ds_write2_b64 v109, v[56:57], v[58:59] offset0:180 offset1:210
	buffer_load_dword v56, off, s[20:23], 0 offset:204 ; 4-byte Folded Reload
	s_waitcnt vmcnt(0)
	ds_write2_b64 v56, v[48:49], v[50:51] offset0:112 offset1:142
	ds_write2_b64 v252, v[36:37], v[38:39] offset1:30
	ds_write2_b64 v252, v[32:33], v[34:35] offset0:60 offset1:90
	ds_write2_b64 v252, v[24:25], v[30:31] offset0:120 offset1:150
	;; [unrolled: 1-line block ×3, first 2 shown]
	buffer_load_dword v24, off, s[20:23], 0 offset:208 ; 4-byte Folded Reload
	s_waitcnt vmcnt(0)
	ds_write2_b64 v24, v[20:21], v[22:23] offset0:112 offset1:142
	ds_write2_b64 v255, v[16:17], v[18:19] offset1:30
	ds_write2_b64 v255, v[12:13], v[14:15] offset0:60 offset1:90
	ds_write2_b64 v255, v[4:5], v[10:11] offset0:120 offset1:150
	;; [unrolled: 1-line block ×3, first 2 shown]
	buffer_load_dword v4, off, s[20:23], 0 offset:220 ; 4-byte Folded Reload
	v_sub_f32_e32 v0, v0, v113
	v_sub_f32_e32 v1, v1, v110
	s_waitcnt vmcnt(0)
	ds_write2_b64 v4, v[0:1], v[2:3] offset0:112 offset1:142
	s_waitcnt lgkmcnt(0)
	s_barrier
	buffer_gl0_inv
	ds_read2_b64 v[4:7], v108 offset1:100
	ds_read2_b64 v[0:3], v196 offset0:72 offset1:172
	ds_read2_b64 v[24:27], v238 offset0:88 offset1:188
	;; [unrolled: 1-line block ×14, first 2 shown]
	s_waitcnt lgkmcnt(13)
	v_mul_f32_e32 v9, v61, v3
	s_waitcnt lgkmcnt(12)
	v_mul_f32_e32 v20, v63, v25
	;; [unrolled: 2-line block ×5, first 2 shown]
	v_fmac_f32_e32 v9, v60, v2
	v_mul_f32_e32 v2, v61, v2
	v_fmac_f32_e32 v20, v62, v24
	v_fmac_f32_e32 v22, v54, v28
	s_waitcnt lgkmcnt(7)
	v_mul_f32_e32 v16, v41, v71
	v_fmac_f32_e32 v12, v52, v50
	v_fma_f32 v11, v60, v3, -v2
	v_mul_f32_e32 v2, v63, v24
	v_mul_f32_e32 v24, v47, v57
	v_fmac_f32_e32 v16, v40, v70
	v_fmac_f32_e32 v14, v44, v66
	v_mul_f32_e32 v38, v87, v59
	v_fma_f32 v18, v62, v25, -v2
	v_mul_f32_e32 v2, v53, v50
	v_fmac_f32_e32 v24, v46, v56
	s_waitcnt lgkmcnt(6)
	v_mul_f32_e32 v25, v43, v105
	v_mul_f32_e32 v50, v99, v49
	v_sub_f32_e32 v62, v20, v22
	v_fma_f32 v8, v52, v51, -v2
	v_mul_f32_e32 v2, v55, v28
	v_fmac_f32_e32 v25, v42, v104
	v_fmac_f32_e32 v50, v98, v48
	;; [unrolled: 1-line block ×3, first 2 shown]
	s_waitcnt lgkmcnt(5)
	v_mul_f32_e32 v17, v227, v112
	v_fma_f32 v19, v54, v29, -v2
	v_mul_f32_e32 v2, v45, v66
	v_mul_f32_e32 v54, v75, v109
	v_sub_f32_e32 v66, v25, v24
	v_mul_f32_e32 v29, v87, v58
	v_mul_f32_e32 v58, v83, v69
	v_fma_f32 v10, v44, v67, -v2
	v_mul_f32_e32 v2, v47, v56
	v_mul_f32_e32 v56, v91, v65
	v_add_f32_e32 v62, v62, v66
	v_mul_f32_e32 v44, v83, v68
	v_fmac_f32_e32 v58, v82, v68
	v_fma_f32 v21, v46, v57, -v2
	v_fma_f32 v57, v74, v110, -v54
	s_waitcnt lgkmcnt(0)
	v_mul_f32_e32 v54, v225, v131
	v_mul_f32_e32 v2, v41, v70
	v_fmac_f32_e32 v56, v90, v64
	v_mul_f32_e32 v41, v91, v64
	v_sub_f32_e32 v55, v19, v21
	v_fma_f32 v60, v224, v132, -v54
	v_add_f32_e32 v54, v4, v20
	v_fma_f32 v13, v40, v71, -v2
	v_mul_f32_e32 v2, v43, v104
	v_mul_f32_e32 v40, v231, v129
	v_fma_f32 v51, v82, v69, -v44
	v_add_f32_e32 v54, v54, v22
	v_fmac_f32_e32 v17, v226, v111
	v_fma_f32 v23, v42, v105, -v2
	v_fma_f32 v52, v230, v130, -v40
	v_mul_f32_e32 v40, v97, v115
	v_add_f32_e32 v54, v54, v24
	v_mul_f32_e32 v2, v227, v111
	v_mul_f32_e32 v34, v103, v27
	v_fma_f32 v35, v86, v59, -v29
	v_fma_f32 v45, v96, v116, -v40
	v_add_f32_e32 v64, v54, v25
	v_add_f32_e32 v54, v22, v24
	v_mul_f32_e32 v40, v99, v48
	v_fma_f32 v15, v226, v112, -v2
	v_mul_f32_e32 v59, v75, v110
	v_fmac_f32_e32 v34, v102, v26
	v_fma_f32 v63, -0.5, v54, v4
	v_sub_f32_e32 v54, v18, v23
	v_fma_f32 v48, v98, v49, -v40
	v_fma_f32 v49, v90, v65, -v41
	v_mul_f32_e32 v36, v95, v31
	v_mul_f32_e32 v47, v73, v128
	v_fmamk_f32 v65, v54, 0xbf737871, v63
	v_fmac_f32_e32 v63, 0x3f737871, v54
	v_mul_f32_e32 v44, v73, v127
	v_fmac_f32_e32 v59, v74, v109
	v_fmac_f32_e32 v36, v94, v30
	;; [unrolled: 1-line block ×5, first 2 shown]
	v_fma_f32 v44, v72, v128, -v44
	v_mul_f32_e32 v39, v79, v107
	v_fmac_f32_e32 v65, 0x3e9e377a, v62
	v_fmac_f32_e32 v63, 0x3e9e377a, v62
	v_add_f32_e32 v62, v20, v25
	v_mul_f32_e32 v26, v103, v26
	v_fmac_f32_e32 v39, v78, v106
	v_mul_f32_e32 v37, v79, v106
	v_mul_f32_e32 v2, v101, v114
	v_fma_f32 v66, -0.5, v62, v4
	v_sub_f32_e32 v4, v22, v20
	v_sub_f32_e32 v62, v24, v25
	v_fma_f32 v32, v102, v27, -v26
	v_mul_f32_e32 v27, v95, v30
	v_fmamk_f32 v67, v55, 0x3f737871, v66
	v_fmac_f32_e32 v66, 0xbf737871, v55
	v_add_f32_e32 v4, v4, v62
	v_fma_f32 v37, v78, v107, -v37
	v_fma_f32 v33, v94, v31, -v27
	v_fmac_f32_e32 v67, 0xbf167918, v54
	v_fmac_f32_e32 v66, 0x3f167918, v54
	v_mul_f32_e32 v30, v85, v122
	v_mul_f32_e32 v31, v77, v126
	;; [unrolled: 1-line block ×3, first 2 shown]
	v_fmac_f32_e32 v67, 0x3e9e377a, v4
	v_fmac_f32_e32 v66, 0x3e9e377a, v4
	v_add_f32_e32 v4, v5, v18
	v_fmac_f32_e32 v30, v84, v121
	v_fmac_f32_e32 v31, v76, v125
	;; [unrolled: 1-line block ×3, first 2 shown]
	v_mul_f32_e32 v28, v93, v118
	v_add_f32_e32 v4, v4, v19
	v_fma_f32 v26, v92, v118, -v26
	v_mul_f32_e32 v27, v85, v121
	v_mul_f32_e32 v29, v77, v125
	;; [unrolled: 1-line block ×3, first 2 shown]
	v_add_f32_e32 v4, v4, v21
	v_fmac_f32_e32 v28, v92, v117
	v_fma_f32 v27, v84, v122, -v27
	v_fma_f32 v29, v76, v126, -v29
	v_fmac_f32_e32 v53, v230, v129
	v_add_f32_e32 v69, v4, v23
	v_add_f32_e32 v4, v19, v21
	v_mul_f32_e32 v3, v101, v113
	v_mul_f32_e32 v46, v81, v124
	;; [unrolled: 1-line block ×4, first 2 shown]
	v_fma_f32 v54, -0.5, v4, v5
	v_sub_f32_e32 v4, v20, v25
	v_sub_f32_e32 v20, v22, v24
	;; [unrolled: 1-line block ×4, first 2 shown]
	v_fma_f32 v3, v100, v114, -v3
	v_fmamk_f32 v68, v4, 0x3f737871, v54
	v_fmac_f32_e32 v54, 0xbf737871, v4
	v_fmac_f32_e32 v46, v80, v123
	v_add_f32_e32 v22, v22, v24
	v_fmac_f32_e32 v43, v96, v115
	v_fmac_f32_e32 v68, 0x3f167918, v20
	;; [unrolled: 1-line block ×3, first 2 shown]
	v_mul_f32_e32 v42, v89, v120
	v_fma_f32 v40, v88, v120, -v40
	v_mul_f32_e32 v41, v81, v123
	v_fmac_f32_e32 v68, 0x3e9e377a, v22
	v_fmac_f32_e32 v54, 0x3e9e377a, v22
	v_add_f32_e32 v22, v18, v23
	v_mul_f32_e32 v61, v225, v132
	v_fmac_f32_e32 v42, v88, v119
	v_fma_f32 v41, v80, v124, -v41
	v_fma_f32 v55, -0.5, v22, v5
	v_sub_f32_e32 v5, v19, v18
	v_sub_f32_e32 v18, v21, v23
	;; [unrolled: 1-line block ×4, first 2 shown]
	v_fmamk_f32 v62, v20, 0xbf737871, v55
	v_fmac_f32_e32 v55, 0x3f737871, v20
	v_add_f32_e32 v5, v5, v18
	v_sub_f32_e32 v23, v16, v17
	v_add_f32_e32 v21, v21, v22
	v_fmac_f32_e32 v62, 0x3f167918, v4
	v_fmac_f32_e32 v55, 0xbf167918, v4
	v_add_f32_e32 v4, v9, v12
	v_sub_f32_e32 v22, v14, v12
	v_fmac_f32_e32 v61, v224, v131
	v_fmac_f32_e32 v62, 0x3e9e377a, v5
	;; [unrolled: 1-line block ×3, first 2 shown]
	v_add_f32_e32 v4, v4, v14
	v_sub_f32_e32 v5, v10, v13
	v_add_f32_e32 v22, v22, v23
	v_add_f32_e32 v4, v4, v16
	;; [unrolled: 1-line block ×4, first 2 shown]
	v_sub_f32_e32 v24, v64, v18
	v_fma_f32 v19, -0.5, v4, v9
	v_sub_f32_e32 v4, v8, v15
	v_fmamk_f32 v20, v4, 0xbf737871, v19
	v_fmac_f32_e32 v19, 0x3f737871, v4
	v_fmac_f32_e32 v20, 0xbf167918, v5
	;; [unrolled: 1-line block ×5, first 2 shown]
	v_add_f32_e32 v21, v12, v17
	v_fmac_f32_e32 v9, -0.5, v21
	v_fmamk_f32 v21, v5, 0x3f737871, v9
	v_fmac_f32_e32 v9, 0xbf737871, v5
	v_sub_f32_e32 v5, v14, v16
	v_sub_f32_e32 v14, v15, v13
	v_fmac_f32_e32 v21, 0xbf167918, v4
	v_fmac_f32_e32 v9, 0x3f167918, v4
	v_add_f32_e32 v4, v11, v8
	v_fmac_f32_e32 v21, 0x3e9e377a, v22
	v_fmac_f32_e32 v9, 0x3e9e377a, v22
	v_add_f32_e32 v4, v4, v10
	v_add_f32_e32 v4, v4, v13
	;; [unrolled: 1-line block ×4, first 2 shown]
	v_fma_f32 v22, -0.5, v4, v11
	v_sub_f32_e32 v4, v12, v17
	v_sub_f32_e32 v12, v8, v10
	v_fmamk_f32 v17, v4, 0x3f737871, v22
	v_fmac_f32_e32 v22, 0xbf737871, v4
	v_add_f32_e32 v12, v12, v14
	v_fmac_f32_e32 v17, 0x3f167918, v5
	v_fmac_f32_e32 v22, 0xbf167918, v5
	v_fmac_f32_e32 v17, 0x3e9e377a, v12
	v_fmac_f32_e32 v22, 0x3e9e377a, v12
	v_add_f32_e32 v12, v8, v15
	v_sub_f32_e32 v8, v10, v8
	v_sub_f32_e32 v10, v13, v15
	v_mul_f32_e32 v25, 0xbf167918, v17
	v_mul_f32_e32 v17, 0x3f4f1bbd, v17
	v_fmac_f32_e32 v11, -0.5, v12
	v_mul_f32_e32 v75, 0xbf4f1bbd, v22
	v_add_f32_e32 v8, v8, v10
	v_fmac_f32_e32 v25, 0x3f4f1bbd, v20
	v_fmac_f32_e32 v17, 0x3f167918, v20
	v_fmamk_f32 v16, v5, 0xbf737871, v11
	v_fmac_f32_e32 v11, 0x3f737871, v5
	v_fmac_f32_e32 v75, 0x3f167918, v19
	v_add_f32_e32 v14, v65, v25
	v_mul_f32_e32 v72, 0xbf167918, v22
	v_fmac_f32_e32 v16, 0x3f167918, v4
	v_fmac_f32_e32 v11, 0xbf167918, v4
	v_add_f32_e32 v5, v69, v23
	v_add_f32_e32 v15, v68, v17
	v_sub_f32_e32 v22, v65, v25
	v_fmac_f32_e32 v16, 0x3e9e377a, v8
	v_fmac_f32_e32 v11, 0x3e9e377a, v8
	v_sub_f32_e32 v25, v69, v23
	v_sub_f32_e32 v23, v68, v17
	;; [unrolled: 1-line block ×3, first 2 shown]
	v_mul_f32_e32 v73, 0x3e9e377a, v16
	v_mul_f32_e32 v71, 0xbf737871, v11
	;; [unrolled: 1-line block ×4, first 2 shown]
	v_fmac_f32_e32 v72, 0xbf4f1bbd, v19
	v_fmac_f32_e32 v73, 0x3f737871, v21
	;; [unrolled: 1-line block ×4, first 2 shown]
	v_add_f32_e32 v9, v54, v75
	v_add_f32_e32 v54, v6, v34
	v_fmac_f32_e32 v70, 0x3e9e377a, v21
	v_add_f32_e32 v13, v62, v73
	v_sub_f32_e32 v21, v62, v73
	v_add_f32_e32 v8, v63, v72
	v_add_f32_e32 v54, v54, v36
	v_sub_f32_e32 v16, v63, v72
	v_add_f32_e32 v4, v64, v18
	v_add_f32_e32 v10, v66, v71
	;; [unrolled: 1-line block ×4, first 2 shown]
	v_sub_f32_e32 v18, v66, v71
	v_sub_f32_e32 v19, v55, v74
	;; [unrolled: 1-line block ×4, first 2 shown]
	v_add_f32_e32 v62, v54, v39
	v_add_f32_e32 v54, v36, v38
	v_sub_f32_e32 v66, v39, v38
	v_add_f32_e32 v12, v67, v70
	v_sub_f32_e32 v20, v67, v70
	v_sub_f32_e32 v67, v38, v39
	v_fma_f32 v63, -0.5, v54, v6
	v_sub_f32_e32 v54, v32, v37
	v_add_f32_e32 v65, v65, v66
	v_sub_f32_e32 v66, v36, v34
	v_sub_f32_e32 v36, v36, v38
	;; [unrolled: 1-line block ×3, first 2 shown]
	v_fmamk_f32 v64, v54, 0xbf737871, v63
	v_fmac_f32_e32 v63, 0x3f737871, v54
	v_add_f32_e32 v66, v66, v67
	v_fmac_f32_e32 v64, 0xbf167918, v55
	v_fmac_f32_e32 v63, 0x3f167918, v55
	;; [unrolled: 1-line block ×4, first 2 shown]
	v_add_f32_e32 v65, v34, v39
	v_sub_f32_e32 v34, v34, v39
	v_fma_f32 v6, -0.5, v65, v6
	v_fmamk_f32 v65, v55, 0x3f737871, v6
	v_fmac_f32_e32 v6, 0xbf737871, v55
	v_sub_f32_e32 v55, v31, v53
	v_fmac_f32_e32 v65, 0xbf167918, v54
	v_fmac_f32_e32 v6, 0x3f167918, v54
	v_add_f32_e32 v54, v7, v32
	v_fmac_f32_e32 v65, 0x3e9e377a, v66
	v_fmac_f32_e32 v6, 0x3e9e377a, v66
	v_add_f32_e32 v54, v54, v33
	v_add_f32_e32 v54, v54, v35
	;; [unrolled: 1-line block ×4, first 2 shown]
	v_fma_f32 v67, -0.5, v54, v7
	v_sub_f32_e32 v54, v37, v35
	v_fmamk_f32 v39, v34, 0x3f737871, v67
	v_fmac_f32_e32 v67, 0xbf737871, v34
	v_add_f32_e32 v38, v38, v54
	v_sub_f32_e32 v54, v53, v31
	v_fmac_f32_e32 v39, 0x3f167918, v36
	v_fmac_f32_e32 v67, 0xbf167918, v36
	;; [unrolled: 1-line block ×4, first 2 shown]
	v_add_f32_e32 v38, v32, v37
	v_sub_f32_e32 v32, v33, v32
	v_sub_f32_e32 v33, v35, v37
	v_sub_f32_e32 v37, v28, v30
	v_fmac_f32_e32 v7, -0.5, v38
	v_add_f32_e32 v32, v32, v33
	v_add_f32_e32 v33, v30, v31
	;; [unrolled: 1-line block ×3, first 2 shown]
	v_fmamk_f32 v38, v36, 0xbf737871, v7
	v_fmac_f32_e32 v7, 0x3f737871, v36
	v_sub_f32_e32 v36, v27, v29
	v_fma_f32 v33, -0.5, v33, v2
	v_sub_f32_e32 v54, v30, v28
	v_fmac_f32_e32 v38, 0x3f167918, v34
	v_fmac_f32_e32 v7, 0xbf167918, v34
	v_sub_f32_e32 v34, v26, v52
	v_add_f32_e32 v54, v54, v55
	v_fmac_f32_e32 v38, 0x3e9e377a, v32
	v_fmac_f32_e32 v7, 0x3e9e377a, v32
	v_fmamk_f32 v35, v34, 0xbf737871, v33
	v_fmac_f32_e32 v33, 0x3f737871, v34
	v_add_f32_e32 v32, v2, v28
	v_fmac_f32_e32 v35, 0xbf167918, v36
	v_fmac_f32_e32 v33, 0x3f167918, v36
	v_add_f32_e32 v32, v32, v30
	v_sub_f32_e32 v30, v30, v31
	v_fmac_f32_e32 v35, 0x3e9e377a, v37
	v_fmac_f32_e32 v33, 0x3e9e377a, v37
	v_add_f32_e32 v37, v28, v53
	v_add_f32_e32 v32, v32, v31
	v_sub_f32_e32 v28, v28, v53
	v_sub_f32_e32 v31, v26, v27
	v_fmac_f32_e32 v2, -0.5, v37
	v_add_f32_e32 v32, v32, v53
	v_sub_f32_e32 v53, v52, v29
	v_fmamk_f32 v37, v36, 0x3f737871, v2
	v_fmac_f32_e32 v2, 0xbf737871, v36
	v_add_f32_e32 v31, v31, v53
	v_fmac_f32_e32 v37, 0xbf167918, v34
	v_fmac_f32_e32 v2, 0x3f167918, v34
	v_add_f32_e32 v34, v3, v26
	v_fmac_f32_e32 v37, 0x3e9e377a, v54
	v_fmac_f32_e32 v2, 0x3e9e377a, v54
	v_add_f32_e32 v34, v34, v27
	v_add_f32_e32 v34, v34, v29
	;; [unrolled: 1-line block ×5, first 2 shown]
	v_fma_f32 v34, -0.5, v34, v3
	v_fmamk_f32 v36, v28, 0x3f737871, v34
	v_fmac_f32_e32 v34, 0xbf737871, v28
	v_fmac_f32_e32 v36, 0x3f167918, v30
	;; [unrolled: 1-line block ×5, first 2 shown]
	v_add_f32_e32 v31, v26, v52
	v_sub_f32_e32 v26, v27, v26
	v_sub_f32_e32 v27, v29, v52
	v_mul_f32_e32 v73, 0x3f4f1bbd, v36
	v_mul_f32_e32 v69, 0xbf167918, v36
	v_fmac_f32_e32 v3, -0.5, v31
	v_mul_f32_e32 v72, 0xbf167918, v34
	v_add_f32_e32 v26, v26, v27
	v_fmac_f32_e32 v73, 0x3f167918, v35
	v_fmac_f32_e32 v69, 0x3f4f1bbd, v35
	v_fmamk_f32 v31, v30, 0xbf737871, v3
	v_fmac_f32_e32 v3, 0x3f737871, v30
	v_add_f32_e32 v52, v62, v32
	v_add_f32_e32 v55, v39, v73
	v_sub_f32_e32 v35, v39, v73
	v_fmac_f32_e32 v31, 0x3f167918, v28
	v_fmac_f32_e32 v3, 0xbf167918, v28
	v_add_f32_e32 v39, v56, v58
	v_fmac_f32_e32 v72, 0xbf4f1bbd, v33
	v_sub_f32_e32 v36, v62, v32
	v_fmac_f32_e32 v31, 0x3e9e377a, v26
	v_fmac_f32_e32 v3, 0x3e9e377a, v26
	v_fma_f32 v39, -0.5, v39, v0
	v_sub_f32_e32 v62, v48, v57
	v_add_f32_e32 v54, v64, v69
	v_mul_f32_e32 v70, 0xbf737871, v31
	v_mul_f32_e32 v71, 0xbf737871, v3
	;; [unrolled: 1-line block ×4, first 2 shown]
	v_add_f32_e32 v30, v63, v72
	v_fmac_f32_e32 v70, 0x3e9e377a, v37
	v_fmac_f32_e32 v71, 0xbe9e377a, v2
	v_fmac_f32_e32 v74, 0x3f737871, v37
	v_fmac_f32_e32 v3, 0x3f737871, v2
	v_mul_f32_e32 v75, 0xbf4f1bbd, v34
	v_add_f32_e32 v26, v65, v70
	v_sub_f32_e32 v34, v64, v69
	v_sub_f32_e32 v32, v65, v70
	;; [unrolled: 1-line block ×4, first 2 shown]
	v_fmamk_f32 v63, v62, 0xbf737871, v39
	v_sub_f32_e32 v64, v49, v51
	v_sub_f32_e32 v65, v50, v56
	;; [unrolled: 1-line block ×3, first 2 shown]
	v_fmac_f32_e32 v39, 0x3f737871, v62
	v_add_f32_e32 v27, v38, v74
	v_fmac_f32_e32 v63, 0xbf167918, v64
	v_fmac_f32_e32 v75, 0x3f167918, v33
	v_add_f32_e32 v65, v65, v66
	v_fmac_f32_e32 v39, 0x3f167918, v64
	v_sub_f32_e32 v33, v38, v74
	v_add_f32_e32 v38, v0, v50
	v_add_f32_e32 v29, v7, v3
	v_fmac_f32_e32 v63, 0x3e9e377a, v65
	v_fmac_f32_e32 v39, 0x3e9e377a, v65
	v_add_f32_e32 v65, v50, v59
	v_add_f32_e32 v31, v67, v75
	v_sub_f32_e32 v7, v7, v3
	v_sub_f32_e32 v3, v67, v75
	v_add_f32_e32 v38, v38, v56
	v_fma_f32 v0, -0.5, v65, v0
	v_sub_f32_e32 v66, v56, v50
	v_sub_f32_e32 v67, v58, v59
	;; [unrolled: 1-line block ×3, first 2 shown]
	v_add_f32_e32 v38, v38, v58
	v_fmamk_f32 v65, v64, 0x3f737871, v0
	v_fmac_f32_e32 v0, 0xbf737871, v64
	v_add_f32_e32 v64, v49, v51
	v_add_f32_e32 v66, v66, v67
	v_add_f32_e32 v38, v38, v59
	v_fmac_f32_e32 v65, 0xbf167918, v62
	v_fmac_f32_e32 v0, 0x3f167918, v62
	v_fma_f32 v64, -0.5, v64, v1
	v_sub_f32_e32 v56, v56, v58
	v_sub_f32_e32 v58, v48, v49
	v_fmac_f32_e32 v65, 0x3e9e377a, v66
	v_fmac_f32_e32 v0, 0x3e9e377a, v66
	v_fmamk_f32 v66, v50, 0x3f737871, v64
	v_sub_f32_e32 v59, v57, v51
	v_fmac_f32_e32 v64, 0xbf737871, v50
	v_add_f32_e32 v62, v1, v48
	v_add_f32_e32 v28, v6, v71
	v_fmac_f32_e32 v66, 0x3f167918, v56
	v_add_f32_e32 v58, v58, v59
	v_fmac_f32_e32 v64, 0xbf167918, v56
	v_add_f32_e32 v62, v62, v49
	v_sub_f32_e32 v6, v6, v71
	v_fmac_f32_e32 v66, 0x3e9e377a, v58
	v_fmac_f32_e32 v64, 0x3e9e377a, v58
	v_add_f32_e32 v58, v48, v57
	v_sub_f32_e32 v48, v49, v48
	v_sub_f32_e32 v49, v51, v57
	v_add_f32_e32 v62, v62, v51
	v_fmac_f32_e32 v1, -0.5, v58
	v_sub_f32_e32 v58, v61, v47
	v_add_f32_e32 v48, v48, v49
	v_add_f32_e32 v49, v46, v47
	;; [unrolled: 1-line block ×3, first 2 shown]
	v_fmamk_f32 v67, v56, 0xbf737871, v1
	v_fmac_f32_e32 v1, 0x3f737871, v56
	v_sub_f32_e32 v56, v41, v44
	v_fma_f32 v49, -0.5, v49, v43
	v_sub_f32_e32 v57, v42, v46
	v_fmac_f32_e32 v67, 0x3f167918, v50
	v_fmac_f32_e32 v1, 0xbf167918, v50
	v_sub_f32_e32 v50, v40, v60
	v_add_f32_e32 v57, v57, v58
	v_fmac_f32_e32 v67, 0x3e9e377a, v48
	v_fmac_f32_e32 v1, 0x3e9e377a, v48
	v_fmamk_f32 v51, v50, 0xbf737871, v49
	v_fmac_f32_e32 v49, 0x3f737871, v50
	v_add_f32_e32 v48, v43, v42
	v_sub_f32_e32 v58, v47, v61
	v_fmac_f32_e32 v51, 0xbf167918, v56
	v_fmac_f32_e32 v49, 0x3f167918, v56
	v_add_f32_e32 v48, v48, v46
	v_fmac_f32_e32 v51, 0x3e9e377a, v57
	v_fmac_f32_e32 v49, 0x3e9e377a, v57
	v_add_f32_e32 v57, v42, v61
	v_add_f32_e32 v48, v48, v47
	v_fmac_f32_e32 v43, -0.5, v57
	v_sub_f32_e32 v57, v46, v42
	v_sub_f32_e32 v42, v42, v61
	;; [unrolled: 1-line block ×4, first 2 shown]
	v_fmamk_f32 v68, v56, 0x3f737871, v43
	v_fmac_f32_e32 v43, 0xbf737871, v56
	v_sub_f32_e32 v56, v60, v44
	v_add_f32_e32 v57, v57, v58
	v_add_f32_e32 v48, v48, v61
	v_fmac_f32_e32 v68, 0xbf167918, v50
	v_fmac_f32_e32 v43, 0x3f167918, v50
	v_add_f32_e32 v50, v45, v40
	v_add_f32_e32 v47, v47, v56
	;; [unrolled: 1-line block ×3, first 2 shown]
	v_fmac_f32_e32 v68, 0x3e9e377a, v57
	v_fmac_f32_e32 v43, 0x3e9e377a, v57
	v_add_f32_e32 v50, v50, v41
	v_add_f32_e32 v50, v50, v44
	;; [unrolled: 1-line block ×5, first 2 shown]
	v_fma_f32 v50, -0.5, v50, v45
	v_fmamk_f32 v59, v42, 0x3f737871, v50
	v_fmac_f32_e32 v50, 0xbf737871, v42
	v_fmac_f32_e32 v59, 0x3f167918, v46
	;; [unrolled: 1-line block ×5, first 2 shown]
	v_add_f32_e32 v47, v40, v60
	v_sub_f32_e32 v40, v41, v40
	v_sub_f32_e32 v41, v44, v60
	v_mul_f32_e32 v71, 0x3f4f1bbd, v59
	v_mul_f32_e32 v70, 0xbf167918, v50
	v_fmac_f32_e32 v45, -0.5, v47
	v_mul_f32_e32 v72, 0xbf4f1bbd, v50
	v_add_f32_e32 v40, v40, v41
	v_fmac_f32_e32 v71, 0x3f167918, v51
	v_fmac_f32_e32 v70, 0xbf4f1bbd, v49
	v_fmamk_f32 v47, v46, 0xbf737871, v45
	v_fmac_f32_e32 v45, 0x3f737871, v46
	v_mul_f32_e32 v46, 0xbf167918, v59
	v_fmac_f32_e32 v72, 0x3f167918, v49
	v_add_f32_e32 v59, v66, v71
	v_fmac_f32_e32 v47, 0x3f167918, v42
	v_fmac_f32_e32 v45, 0xbf167918, v42
	v_fmac_f32_e32 v46, 0x3f4f1bbd, v51
	v_add_f32_e32 v44, v39, v70
	v_sub_f32_e32 v50, v38, v48
	v_fmac_f32_e32 v47, 0x3e9e377a, v40
	v_fmac_f32_e32 v45, 0x3e9e377a, v40
	v_add_f32_e32 v58, v63, v46
	ds_write_b64 v108, v[14:15] offset:2400
	ds_write_b64 v108, v[12:13] offset:4800
	;; [unrolled: 1-line block ×9, first 2 shown]
	ds_write2_b64 v108, v[4:5], v[52:53] offset1:100
	ds_write_b64 v108, v[56:57] offset:1600
	ds_write2_b64 v239, v[54:55], v[58:59] offset0:144 offset1:244
	v_add_nc_u32_e32 v4, 0x1400, v108
	v_mul_f32_e32 v60, 0xbf737871, v47
	v_mul_f32_e32 v47, 0x3e9e377a, v47
	;; [unrolled: 1-line block ×3, first 2 shown]
	v_sub_f32_e32 v51, v62, v69
	v_sub_f32_e32 v48, v63, v46
	v_fmac_f32_e32 v60, 0x3e9e377a, v68
	v_fmac_f32_e32 v47, 0x3f737871, v68
	v_mul_f32_e32 v68, 0xbe9e377a, v45
	v_fmac_f32_e32 v61, 0xbe9e377a, v43
	v_add_f32_e32 v45, v64, v72
	v_add_f32_e32 v40, v65, v60
	;; [unrolled: 1-line block ×3, first 2 shown]
	v_fmac_f32_e32 v68, 0x3f737871, v43
	v_add_f32_e32 v42, v0, v61
	v_sub_f32_e32 v49, v66, v71
	v_sub_f32_e32 v46, v65, v60
	;; [unrolled: 1-line block ×3, first 2 shown]
	v_add_f32_e32 v43, v1, v68
	v_sub_f32_e32 v0, v39, v70
	v_sub_f32_e32 v47, v67, v47
	;; [unrolled: 1-line block ×3, first 2 shown]
	ds_write2_b64 v4, v[26:27], v[40:41] offset0:60 offset1:160
	ds_write2_b64 v235, v[28:29], v[42:43] offset0:104 offset1:204
	ds_write2_b64 v202, v[30:31], v[44:45] offset0:20 offset1:120
	ds_write2_b64 v237, v[36:37], v[50:51] offset0:64 offset1:164
	ds_write2_b64 v201, v[34:35], v[48:49] offset0:108 offset1:208
	ds_write2_b64 v236, v[32:33], v[46:47] offset0:152 offset1:252
	v_add_nc_u32_e32 v4, 0x4c00, v108
	v_sub_f32_e32 v1, v64, v72
	ds_write2_b64 v4, v[6:7], v[38:39] offset0:68 offset1:168
	ds_write2_b64 v245, v[2:3], v[0:1] offset0:112 offset1:212
	s_waitcnt lgkmcnt(0)
	s_barrier
	buffer_gl0_inv
	ds_read2_b64 v[28:31], v108 offset1:100
	s_clause 0x2
	buffer_load_dword v1, off, s[20:23], 0 offset:168
	buffer_load_dword v2, off, s[20:23], 0 offset:172
	;; [unrolled: 1-line block ×3, first 2 shown]
	s_waitcnt vmcnt(1) lgkmcnt(0)
	v_mul_f32_e32 v0, v2, v29
	v_mov_b32_e32 v3, v2
	v_mov_b32_e32 v2, v1
	v_fmac_f32_e32 v0, v1, v28
	v_cvt_f64_f32_e32 v[0:1], v0
	v_mul_f64 v[0:1], v[0:1], s[2:3]
	v_cvt_f32_f64_e32 v0, v[0:1]
	v_mul_f32_e32 v1, v3, v28
	v_fma_f32 v1, v2, v29, -v1
	v_cvt_f64_f32_e32 v[1:2], v1
	v_mul_f64 v[1:2], v[1:2], s[2:3]
	v_cvt_f32_f64_e32 v1, v[1:2]
	s_waitcnt vmcnt(0)
	v_mad_u64_u32 v[2:3], null, s0, v4, 0
	v_mad_u64_u32 v[3:4], null, s1, v4, v[3:4]
	s_clause 0x1
	buffer_load_dword v4, off, s[20:23], 0 offset:160
	buffer_load_dword v5, off, s[20:23], 0 offset:164
	ds_read2_b64 v[16:19], v196 offset0:72 offset1:172
	s_mulk_i32 s1, 0xaec0
	s_sub_i32 s1, s1, s0
	v_lshlrev_b64 v[2:3], 3, v[2:3]
	s_waitcnt vmcnt(0)
	v_lshlrev_b64 v[4:5], 3, v[4:5]
	v_add_co_u32 v4, vcc_lo, s12, v4
	v_add_co_ci_u32_e32 v5, vcc_lo, s13, v5, vcc_lo
	v_add_co_u32 v2, vcc_lo, v4, v2
	v_add_co_ci_u32_e32 v3, vcc_lo, v5, v3, vcc_lo
	global_store_dwordx2 v[2:3], v[0:1], off
	s_clause 0x1
	buffer_load_dword v4, off, s[20:23], 0 offset:176
	buffer_load_dword v5, off, s[20:23], 0 offset:180
	v_add_co_u32 v2, vcc_lo, v2, s5
	v_add_co_ci_u32_e32 v3, vcc_lo, s4, v3, vcc_lo
	ds_read2_b64 v[26:29], v238 offset0:88 offset1:188
	s_waitcnt vmcnt(0) lgkmcnt(1)
	v_mul_f32_e32 v0, v5, v19
	v_fmac_f32_e32 v0, v4, v18
	v_cvt_f64_f32_e32 v[0:1], v0
	v_mul_f64 v[0:1], v[0:1], s[2:3]
	v_cvt_f32_f64_e32 v0, v[0:1]
	v_mul_f32_e32 v1, v5, v18
	v_fma_f32 v1, v4, v19, -v1
	v_cvt_f64_f32_e32 v[4:5], v1
	v_mul_f64 v[4:5], v[4:5], s[2:3]
	v_cvt_f32_f64_e32 v1, v[4:5]
	global_store_dwordx2 v[2:3], v[0:1], off
	s_clause 0x1
	buffer_load_dword v4, off, s[20:23], 0 offset:184
	buffer_load_dword v5, off, s[20:23], 0 offset:188
	v_add_co_u32 v2, vcc_lo, v2, s5
	v_add_co_ci_u32_e32 v3, vcc_lo, s4, v3, vcc_lo
	ds_read2_b64 v[12:15], v244 offset0:32 offset1:132
	s_waitcnt vmcnt(0) lgkmcnt(1)
	v_mul_f32_e32 v0, v5, v27
	v_fmac_f32_e32 v0, v4, v26
	v_cvt_f64_f32_e32 v[0:1], v0
	v_mul_f64 v[0:1], v[0:1], s[2:3]
	v_cvt_f32_f64_e32 v0, v[0:1]
	v_mul_f32_e32 v1, v5, v26
	v_fma_f32 v1, v4, v27, -v1
	v_cvt_f64_f32_e32 v[4:5], v1
	v_mul_f64 v[4:5], v[4:5], s[2:3]
	v_cvt_f32_f64_e32 v1, v[4:5]
	;; [unrolled: 18-line block ×6, first 2 shown]
	ds_read2_b64 v[4:7], v246 offset0:80 offset1:180
	global_store_dwordx2 v[2:3], v[0:1], off
	s_waitcnt lgkmcnt(0)
	v_mul_f32_e32 v0, v254, v7
	v_add_co_u32 v2, vcc_lo, v2, s5
	v_add_co_ci_u32_e32 v3, vcc_lo, s4, v3, vcc_lo
	v_fmac_f32_e32 v0, v253, v6
	v_cvt_f64_f32_e32 v[0:1], v0
	v_mul_f64 v[0:1], v[0:1], s[2:3]
	v_cvt_f32_f64_e32 v0, v[0:1]
	v_mul_f32_e32 v1, v254, v6
	v_fma_f32 v1, v253, v7, -v1
	v_cvt_f64_f32_e32 v[6:7], v1
	v_mul_f64 v[6:7], v[6:7], s[2:3]
	v_cvt_f32_f64_e32 v1, v[6:7]
	global_store_dwordx2 v[2:3], v[0:1], off
	v_mul_f32_e32 v0, v243, v19
	v_fmac_f32_e32 v0, v242, v18
	v_cvt_f64_f32_e32 v[0:1], v0
	v_mul_f64 v[0:1], v[0:1], s[2:3]
	v_cvt_f32_f64_e32 v0, v[0:1]
	v_mul_f32_e32 v1, v243, v18
	v_fma_f32 v1, v242, v19, -v1
	v_cvt_f64_f32_e32 v[6:7], v1
	v_mul_f64 v[6:7], v[6:7], s[2:3]
	v_cvt_f32_f64_e32 v1, v[6:7]
	v_add_co_u32 v6, vcc_lo, v2, s5
	v_add_co_ci_u32_e32 v7, vcc_lo, s4, v3, vcc_lo
	global_store_dwordx2 v[6:7], v[0:1], off
	ds_read2_b64 v[0:3], v200 offset0:40 offset1:140
	s_waitcnt lgkmcnt(0)
	v_mul_f32_e32 v10, v241, v3
	v_fmac_f32_e32 v10, v240, v2
	v_mul_f32_e32 v2, v241, v2
	v_cvt_f64_f32_e32 v[10:11], v10
	v_fma_f32 v2, v240, v3, -v2
	v_cvt_f64_f32_e32 v[2:3], v2
	v_mul_f64 v[10:11], v[10:11], s[2:3]
	v_mul_f64 v[2:3], v[2:3], s[2:3]
	v_cvt_f32_f64_e32 v10, v[10:11]
	v_cvt_f32_f64_e32 v11, v[2:3]
	v_add_co_u32 v2, vcc_lo, v6, s5
	v_add_co_ci_u32_e32 v3, vcc_lo, s4, v7, vcc_lo
	global_store_dwordx2 v[2:3], v[10:11], off
	s_clause 0x1
	buffer_load_dword v10, off, s[20:23], 0 offset:152
	buffer_load_dword v11, off, s[20:23], 0 offset:156
	v_mad_u64_u32 v[2:3], null, 0xffffaec0, s0, v[2:3]
	v_add_nc_u32_e32 v3, s1, v3
	s_waitcnt vmcnt(0)
	v_mul_f32_e32 v6, v11, v31
	v_fmac_f32_e32 v6, v10, v30
	v_cvt_f64_f32_e32 v[6:7], v6
	v_mul_f64 v[6:7], v[6:7], s[2:3]
	v_cvt_f32_f64_e32 v6, v[6:7]
	v_mul_f32_e32 v7, v11, v30
	v_fma_f32 v7, v10, v31, -v7
	ds_read2_b64 v[30:33], v239 offset0:144 offset1:244
	v_cvt_f64_f32_e32 v[10:11], v7
	v_mul_f64 v[10:11], v[10:11], s[2:3]
	v_cvt_f32_f64_e32 v7, v[10:11]
	global_store_dwordx2 v[2:3], v[6:7], off
	s_clause 0x1
	buffer_load_dword v10, off, s[20:23], 0 offset:144
	buffer_load_dword v11, off, s[20:23], 0 offset:148
	v_add_co_u32 v2, vcc_lo, v2, s5
	v_add_co_ci_u32_e32 v3, vcc_lo, s4, v3, vcc_lo
	s_waitcnt vmcnt(0) lgkmcnt(0)
	v_mul_f32_e32 v6, v11, v31
	v_fmac_f32_e32 v6, v10, v30
	v_cvt_f64_f32_e32 v[6:7], v6
	v_mul_f64 v[6:7], v[6:7], s[2:3]
	v_cvt_f32_f64_e32 v6, v[6:7]
	v_mul_f32_e32 v7, v11, v30
	v_fma_f32 v7, v10, v31, -v7
	v_cvt_f64_f32_e32 v[10:11], v7
	v_mul_f64 v[10:11], v[10:11], s[2:3]
	v_cvt_f32_f64_e32 v7, v[10:11]
	global_store_dwordx2 v[2:3], v[6:7], off
	s_clause 0x1
	buffer_load_dword v10, off, s[20:23], 0 offset:136
	buffer_load_dword v11, off, s[20:23], 0 offset:140
	v_add_co_u32 v2, vcc_lo, v2, s5
	v_add_co_ci_u32_e32 v3, vcc_lo, s4, v3, vcc_lo
	s_waitcnt vmcnt(0)
	v_mul_f32_e32 v6, v11, v29
	v_fmac_f32_e32 v6, v10, v28
	v_cvt_f64_f32_e32 v[6:7], v6
	v_mul_f64 v[6:7], v[6:7], s[2:3]
	v_cvt_f32_f64_e32 v6, v[6:7]
	v_mul_f32_e32 v7, v11, v28
	v_fma_f32 v7, v10, v29, -v7
	ds_read2_b64 v[28:31], v235 offset0:104 offset1:204
	v_cvt_f64_f32_e32 v[10:11], v7
	v_mul_f64 v[10:11], v[10:11], s[2:3]
	v_cvt_f32_f64_e32 v7, v[10:11]
	global_store_dwordx2 v[2:3], v[6:7], off
	s_clause 0x1
	buffer_load_dword v10, off, s[20:23], 0 offset:128
	buffer_load_dword v11, off, s[20:23], 0 offset:132
	v_add_co_u32 v2, vcc_lo, v2, s5
	v_add_co_ci_u32_e32 v3, vcc_lo, s4, v3, vcc_lo
	s_waitcnt vmcnt(0) lgkmcnt(0)
	v_mul_f32_e32 v6, v11, v29
	v_fmac_f32_e32 v6, v10, v28
	v_cvt_f64_f32_e32 v[6:7], v6
	v_mul_f64 v[6:7], v[6:7], s[2:3]
	v_cvt_f32_f64_e32 v6, v[6:7]
	v_mul_f32_e32 v7, v11, v28
	v_fma_f32 v7, v10, v29, -v7
	v_cvt_f64_f32_e32 v[10:11], v7
	v_mul_f64 v[10:11], v[10:11], s[2:3]
	v_cvt_f32_f64_e32 v7, v[10:11]
	global_store_dwordx2 v[2:3], v[6:7], off
	s_clause 0x1
	buffer_load_dword v10, off, s[20:23], 0 offset:120
	buffer_load_dword v11, off, s[20:23], 0 offset:124
	v_add_co_u32 v2, vcc_lo, v2, s5
	v_add_co_ci_u32_e32 v3, vcc_lo, s4, v3, vcc_lo
	;; [unrolled: 35-line block ×4, first 2 shown]
	s_waitcnt vmcnt(0)
	v_mul_f32_e32 v6, v11, v21
	v_fmac_f32_e32 v6, v10, v20
	v_cvt_f64_f32_e32 v[6:7], v6
	v_mul_f64 v[6:7], v[6:7], s[2:3]
	v_cvt_f32_f64_e32 v6, v[6:7]
	v_mul_f32_e32 v7, v11, v20
	v_fma_f32 v7, v10, v21, -v7
	ds_read2_b64 v[18:21], v245 offset0:112 offset1:212
	v_cvt_f64_f32_e32 v[10:11], v7
	v_mul_f64 v[10:11], v[10:11], s[2:3]
	v_cvt_f32_f64_e32 v7, v[10:11]
	global_store_dwordx2 v[2:3], v[6:7], off
	s_clause 0x1
	buffer_load_dword v10, off, s[20:23], 0
	buffer_load_dword v11, off, s[20:23], 0 offset:4
	v_add_co_u32 v2, vcc_lo, v2, s5
	v_add_co_ci_u32_e32 v3, vcc_lo, s4, v3, vcc_lo
	s_waitcnt vmcnt(0) lgkmcnt(0)
	v_mul_f32_e32 v6, v11, v19
	v_fmac_f32_e32 v6, v10, v18
	v_cvt_f64_f32_e32 v[6:7], v6
	v_mul_f64 v[6:7], v[6:7], s[2:3]
	v_cvt_f32_f64_e32 v6, v[6:7]
	v_mul_f32_e32 v7, v11, v18
	v_fma_f32 v7, v10, v19, -v7
	v_cvt_f64_f32_e32 v[10:11], v7
	v_mul_f64 v[10:11], v[10:11], s[2:3]
	v_cvt_f32_f64_e32 v7, v[10:11]
	global_store_dwordx2 v[2:3], v[6:7], off
	s_clause 0x1
	buffer_load_dword v10, off, s[20:23], 0 offset:112
	buffer_load_dword v11, off, s[20:23], 0 offset:116
	v_mad_u64_u32 v[2:3], null, 0xffffaec0, s0, v[2:3]
	v_add_nc_u32_e32 v3, s1, v3
	s_waitcnt vmcnt(0)
	v_mul_f32_e32 v6, v11, v17
	v_fmac_f32_e32 v6, v10, v16
	v_cvt_f64_f32_e32 v[6:7], v6
	v_mul_f64 v[6:7], v[6:7], s[2:3]
	v_cvt_f32_f64_e32 v6, v[6:7]
	v_mul_f32_e32 v7, v11, v16
	v_fma_f32 v7, v10, v17, -v7
	v_cvt_f64_f32_e32 v[10:11], v7
	v_mul_f64 v[10:11], v[10:11], s[2:3]
	v_cvt_f32_f64_e32 v7, v[10:11]
	global_store_dwordx2 v[2:3], v[6:7], off
	s_clause 0x1
	buffer_load_dword v10, off, s[20:23], 0 offset:96
	buffer_load_dword v11, off, s[20:23], 0 offset:100
	v_add_co_u32 v2, vcc_lo, v2, s5
	v_add_co_ci_u32_e32 v3, vcc_lo, s4, v3, vcc_lo
	s_waitcnt vmcnt(0)
	v_mul_f32_e32 v6, v11, v33
	v_fmac_f32_e32 v6, v10, v32
	v_cvt_f64_f32_e32 v[6:7], v6
	v_mul_f64 v[6:7], v[6:7], s[2:3]
	v_cvt_f32_f64_e32 v6, v[6:7]
	v_mul_f32_e32 v7, v11, v32
	v_fma_f32 v7, v10, v33, -v7
	v_cvt_f64_f32_e32 v[10:11], v7
	v_mul_f64 v[10:11], v[10:11], s[2:3]
	v_cvt_f32_f64_e32 v7, v[10:11]
	global_store_dwordx2 v[2:3], v[6:7], off
	s_clause 0x1
	buffer_load_dword v10, off, s[20:23], 0 offset:88
	buffer_load_dword v11, off, s[20:23], 0 offset:92
	v_add_co_u32 v2, vcc_lo, v2, s5
	v_add_co_ci_u32_e32 v3, vcc_lo, s4, v3, vcc_lo
	;; [unrolled: 17-line block ×5, first 2 shown]
	s_waitcnt vmcnt(0)
	v_mul_f32_e32 v6, v8, v25
	v_mov_b32_e32 v9, v8
	v_mov_b32_e32 v8, v7
	v_fmac_f32_e32 v6, v7, v24
	v_cvt_f64_f32_e32 v[6:7], v6
	v_mul_f64 v[6:7], v[6:7], s[2:3]
	v_cvt_f32_f64_e32 v6, v[6:7]
	v_mul_f32_e32 v7, v9, v24
	v_fma_f32 v7, v8, v25, -v7
	v_cvt_f64_f32_e32 v[7:8], v7
	v_mul_f64 v[7:8], v[7:8], s[2:3]
	v_cvt_f32_f64_e32 v7, v[7:8]
	global_store_dwordx2 v[2:3], v[6:7], off
	s_clause 0x1
	buffer_load_dword v7, off, s[20:23], 0 offset:16
	buffer_load_dword v8, off, s[20:23], 0 offset:20
	v_add_co_u32 v2, vcc_lo, v2, s5
	v_add_co_ci_u32_e32 v3, vcc_lo, s4, v3, vcc_lo
	s_waitcnt vmcnt(0)
	v_mul_f32_e32 v6, v8, v5
	v_mov_b32_e32 v9, v8
	v_mov_b32_e32 v8, v7
	v_fmac_f32_e32 v6, v7, v4
	v_mul_f32_e32 v4, v9, v4
	v_cvt_f64_f32_e32 v[6:7], v6
	v_fma_f32 v4, v8, v5, -v4
	v_cvt_f64_f32_e32 v[4:5], v4
	v_mul_f64 v[6:7], v[6:7], s[2:3]
	v_mul_f64 v[4:5], v[4:5], s[2:3]
	v_cvt_f32_f64_e32 v6, v[6:7]
	v_cvt_f32_f64_e32 v7, v[4:5]
	global_store_dwordx2 v[2:3], v[6:7], off
	s_clause 0x1
	buffer_load_dword v5, off, s[20:23], 0 offset:24
	buffer_load_dword v6, off, s[20:23], 0 offset:28
	v_add_co_u32 v2, vcc_lo, v2, s5
	v_add_co_ci_u32_e32 v3, vcc_lo, s4, v3, vcc_lo
	s_waitcnt vmcnt(0)
	v_mul_f32_e32 v4, v6, v29
	v_mov_b32_e32 v7, v6
	v_mov_b32_e32 v6, v5
	v_fmac_f32_e32 v4, v5, v28
	v_cvt_f64_f32_e32 v[4:5], v4
	v_mul_f64 v[4:5], v[4:5], s[2:3]
	v_cvt_f32_f64_e32 v4, v[4:5]
	v_mul_f32_e32 v5, v7, v28
	v_fma_f32 v5, v6, v29, -v5
	v_cvt_f64_f32_e32 v[5:6], v5
	v_mul_f64 v[5:6], v[5:6], s[2:3]
	v_cvt_f32_f64_e32 v5, v[5:6]
	global_store_dwordx2 v[2:3], v[4:5], off
	s_clause 0x1
	buffer_load_dword v5, off, s[20:23], 0 offset:48
	buffer_load_dword v6, off, s[20:23], 0 offset:52
	s_waitcnt vmcnt(0)
	v_mul_f32_e32 v4, v6, v1
	v_mov_b32_e32 v7, v6
	v_mov_b32_e32 v6, v5
	v_fmac_f32_e32 v4, v5, v0
	v_mul_f32_e32 v0, v7, v0
	v_cvt_f64_f32_e32 v[4:5], v4
	v_fma_f32 v0, v6, v1, -v0
	v_cvt_f64_f32_e32 v[0:1], v0
	v_mul_f64 v[4:5], v[4:5], s[2:3]
	v_mul_f64 v[0:1], v[0:1], s[2:3]
	v_cvt_f32_f64_e32 v4, v[4:5]
	v_cvt_f32_f64_e32 v5, v[0:1]
	v_add_co_u32 v0, vcc_lo, v2, s5
	v_add_co_ci_u32_e32 v1, vcc_lo, s4, v3, vcc_lo
	global_store_dwordx2 v[0:1], v[4:5], off
	s_clause 0x1
	buffer_load_dword v3, off, s[20:23], 0 offset:56
	buffer_load_dword v4, off, s[20:23], 0 offset:60
	v_add_co_u32 v0, vcc_lo, v0, s5
	v_add_co_ci_u32_e32 v1, vcc_lo, s4, v1, vcc_lo
	s_waitcnt vmcnt(0)
	v_mul_f32_e32 v2, v4, v21
	v_mov_b32_e32 v5, v4
	v_mov_b32_e32 v4, v3
	v_fmac_f32_e32 v2, v3, v20
	v_cvt_f64_f32_e32 v[2:3], v2
	v_mul_f64 v[2:3], v[2:3], s[2:3]
	v_cvt_f32_f64_e32 v2, v[2:3]
	v_mul_f32_e32 v3, v5, v20
	v_fma_f32 v3, v4, v21, -v3
	v_cvt_f64_f32_e32 v[3:4], v3
	v_mul_f64 v[3:4], v[3:4], s[2:3]
	v_cvt_f32_f64_e32 v3, v[3:4]
	global_store_dwordx2 v[0:1], v[2:3], off
.LBB0_2:
	s_endpgm
	.section	.rodata,"a",@progbits
	.p2align	6, 0x0
	.amdhsa_kernel bluestein_single_fwd_len3000_dim1_sp_op_CI_CI
		.amdhsa_group_segment_fixed_size 24000
		.amdhsa_private_segment_fixed_size 288
		.amdhsa_kernarg_size 104
		.amdhsa_user_sgpr_count 6
		.amdhsa_user_sgpr_private_segment_buffer 1
		.amdhsa_user_sgpr_dispatch_ptr 0
		.amdhsa_user_sgpr_queue_ptr 0
		.amdhsa_user_sgpr_kernarg_segment_ptr 1
		.amdhsa_user_sgpr_dispatch_id 0
		.amdhsa_user_sgpr_flat_scratch_init 0
		.amdhsa_user_sgpr_private_segment_size 0
		.amdhsa_wavefront_size32 1
		.amdhsa_uses_dynamic_stack 0
		.amdhsa_system_sgpr_private_segment_wavefront_offset 1
		.amdhsa_system_sgpr_workgroup_id_x 1
		.amdhsa_system_sgpr_workgroup_id_y 0
		.amdhsa_system_sgpr_workgroup_id_z 0
		.amdhsa_system_sgpr_workgroup_info 0
		.amdhsa_system_vgpr_workitem_id 0
		.amdhsa_next_free_vgpr 256
		.amdhsa_next_free_sgpr 24
		.amdhsa_reserve_vcc 1
		.amdhsa_reserve_flat_scratch 0
		.amdhsa_float_round_mode_32 0
		.amdhsa_float_round_mode_16_64 0
		.amdhsa_float_denorm_mode_32 3
		.amdhsa_float_denorm_mode_16_64 3
		.amdhsa_dx10_clamp 1
		.amdhsa_ieee_mode 1
		.amdhsa_fp16_overflow 0
		.amdhsa_workgroup_processor_mode 1
		.amdhsa_memory_ordered 1
		.amdhsa_forward_progress 0
		.amdhsa_shared_vgpr_count 0
		.amdhsa_exception_fp_ieee_invalid_op 0
		.amdhsa_exception_fp_denorm_src 0
		.amdhsa_exception_fp_ieee_div_zero 0
		.amdhsa_exception_fp_ieee_overflow 0
		.amdhsa_exception_fp_ieee_underflow 0
		.amdhsa_exception_fp_ieee_inexact 0
		.amdhsa_exception_int_div_zero 0
	.end_amdhsa_kernel
	.text
.Lfunc_end0:
	.size	bluestein_single_fwd_len3000_dim1_sp_op_CI_CI, .Lfunc_end0-bluestein_single_fwd_len3000_dim1_sp_op_CI_CI
                                        ; -- End function
	.section	.AMDGPU.csdata,"",@progbits
; Kernel info:
; codeLenInByte = 32188
; NumSgprs: 26
; NumVgprs: 256
; ScratchSize: 288
; MemoryBound: 0
; FloatMode: 240
; IeeeMode: 1
; LDSByteSize: 24000 bytes/workgroup (compile time only)
; SGPRBlocks: 3
; VGPRBlocks: 31
; NumSGPRsForWavesPerEU: 26
; NumVGPRsForWavesPerEU: 256
; Occupancy: 4
; WaveLimiterHint : 1
; COMPUTE_PGM_RSRC2:SCRATCH_EN: 1
; COMPUTE_PGM_RSRC2:USER_SGPR: 6
; COMPUTE_PGM_RSRC2:TRAP_HANDLER: 0
; COMPUTE_PGM_RSRC2:TGID_X_EN: 1
; COMPUTE_PGM_RSRC2:TGID_Y_EN: 0
; COMPUTE_PGM_RSRC2:TGID_Z_EN: 0
; COMPUTE_PGM_RSRC2:TIDIG_COMP_CNT: 0
	.text
	.p2alignl 6, 3214868480
	.fill 48, 4, 3214868480
	.type	__hip_cuid_5e09f9fb259b0245,@object ; @__hip_cuid_5e09f9fb259b0245
	.section	.bss,"aw",@nobits
	.globl	__hip_cuid_5e09f9fb259b0245
__hip_cuid_5e09f9fb259b0245:
	.byte	0                               ; 0x0
	.size	__hip_cuid_5e09f9fb259b0245, 1

	.ident	"AMD clang version 19.0.0git (https://github.com/RadeonOpenCompute/llvm-project roc-6.4.0 25133 c7fe45cf4b819c5991fe208aaa96edf142730f1d)"
	.section	".note.GNU-stack","",@progbits
	.addrsig
	.addrsig_sym __hip_cuid_5e09f9fb259b0245
	.amdgpu_metadata
---
amdhsa.kernels:
  - .args:
      - .actual_access:  read_only
        .address_space:  global
        .offset:         0
        .size:           8
        .value_kind:     global_buffer
      - .actual_access:  read_only
        .address_space:  global
        .offset:         8
        .size:           8
        .value_kind:     global_buffer
      - .actual_access:  read_only
        .address_space:  global
        .offset:         16
        .size:           8
        .value_kind:     global_buffer
      - .actual_access:  read_only
        .address_space:  global
        .offset:         24
        .size:           8
        .value_kind:     global_buffer
      - .actual_access:  read_only
        .address_space:  global
        .offset:         32
        .size:           8
        .value_kind:     global_buffer
      - .offset:         40
        .size:           8
        .value_kind:     by_value
      - .address_space:  global
        .offset:         48
        .size:           8
        .value_kind:     global_buffer
      - .address_space:  global
        .offset:         56
        .size:           8
        .value_kind:     global_buffer
      - .address_space:  global
        .offset:         64
        .size:           8
        .value_kind:     global_buffer
      - .address_space:  global
        .offset:         72
        .size:           8
        .value_kind:     global_buffer
      - .offset:         80
        .size:           4
        .value_kind:     by_value
      - .address_space:  global
        .offset:         88
        .size:           8
        .value_kind:     global_buffer
      - .address_space:  global
        .offset:         96
        .size:           8
        .value_kind:     global_buffer
    .group_segment_fixed_size: 24000
    .kernarg_segment_align: 8
    .kernarg_segment_size: 104
    .language:       OpenCL C
    .language_version:
      - 2
      - 0
    .max_flat_workgroup_size: 100
    .name:           bluestein_single_fwd_len3000_dim1_sp_op_CI_CI
    .private_segment_fixed_size: 288
    .sgpr_count:     26
    .sgpr_spill_count: 0
    .symbol:         bluestein_single_fwd_len3000_dim1_sp_op_CI_CI.kd
    .uniform_work_group_size: 1
    .uses_dynamic_stack: false
    .vgpr_count:     256
    .vgpr_spill_count: 71
    .wavefront_size: 32
    .workgroup_processor_mode: 1
amdhsa.target:   amdgcn-amd-amdhsa--gfx1030
amdhsa.version:
  - 1
  - 2
...

	.end_amdgpu_metadata
